;; amdgpu-corpus repo=ROCm/rocFFT kind=compiled arch=gfx1201 opt=O3
	.text
	.amdgcn_target "amdgcn-amd-amdhsa--gfx1201"
	.amdhsa_code_object_version 6
	.protected	fft_rtc_fwd_len168_factors_3_7_8_wgs_192_tpt_8_dim2_sp_ip_CI_sbcc_twdbase8_2step_dirReg ; -- Begin function fft_rtc_fwd_len168_factors_3_7_8_wgs_192_tpt_8_dim2_sp_ip_CI_sbcc_twdbase8_2step_dirReg
	.globl	fft_rtc_fwd_len168_factors_3_7_8_wgs_192_tpt_8_dim2_sp_ip_CI_sbcc_twdbase8_2step_dirReg
	.p2align	8
	.type	fft_rtc_fwd_len168_factors_3_7_8_wgs_192_tpt_8_dim2_sp_ip_CI_sbcc_twdbase8_2step_dirReg,@function
fft_rtc_fwd_len168_factors_3_7_8_wgs_192_tpt_8_dim2_sp_ip_CI_sbcc_twdbase8_2step_dirReg: ; @fft_rtc_fwd_len168_factors_3_7_8_wgs_192_tpt_8_dim2_sp_ip_CI_sbcc_twdbase8_2step_dirReg
; %bb.0:
	s_load_b128 s[4:7], s[0:1], 0x10
	s_mov_b32 s3, 0
	s_mov_b32 s8, 0xaaaa0000
	;; [unrolled: 1-line block ×4, first 2 shown]
	s_movk_i32 s10, 0xffe8
	s_add_nc_u64 s[8:9], s[2:3], s[8:9]
	s_mov_b32 s11, -1
	s_add_co_i32 s9, s9, 0xaaaaa80
	s_mov_b32 s18, -1
	s_mul_u64 s[12:13], s[8:9], s[10:11]
	s_delay_alu instid0(SALU_CYCLE_1)
	s_mul_hi_u32 s2, s8, s12
	s_mul_i32 s15, s9, s12
	s_mul_hi_u32 s14, s9, s12
	s_mul_hi_u32 s16, s9, s13
	s_mul_i32 s12, s9, s13
	s_wait_kmcnt 0x0
	s_load_b64 s[10:11], s[4:5], 0x8
	s_mul_hi_u32 s5, s8, s13
	s_mul_i32 s4, s8, s13
	s_delay_alu instid0(SALU_CYCLE_1) | instskip(NEXT) | instid1(SALU_CYCLE_1)
	s_add_nc_u64 s[4:5], s[2:3], s[4:5]
	s_add_co_u32 s2, s4, s15
	s_add_co_ci_u32 s2, s5, s14
	s_add_co_ci_u32 s13, s16, 0
	s_mov_b64 s[16:17], 0
	s_add_nc_u64 s[4:5], s[2:3], s[12:13]
	s_delay_alu instid0(SALU_CYCLE_1) | instskip(NEXT) | instid1(VALU_DEP_1)
	v_add_co_u32 v1, s2, s8, s4
	s_cmp_lg_u32 s2, 0
	s_add_co_ci_u32 s12, s9, s5
	s_delay_alu instid0(VALU_DEP_1)
	v_readfirstlane_b32 s13, v1
	s_wait_kmcnt 0x0
	s_add_nc_u64 s[4:5], s[10:11], -1
	s_wait_alu 0xfffe
	s_mul_hi_u32 s9, s4, s12
	s_mul_i32 s8, s4, s12
	s_mul_hi_u32 s2, s4, s13
	s_mul_hi_u32 s15, s5, s13
	s_mul_i32 s13, s5, s13
	s_wait_alu 0xfffe
	s_add_nc_u64 s[8:9], s[2:3], s[8:9]
	s_mul_hi_u32 s14, s5, s12
	s_wait_alu 0xfffe
	s_add_co_u32 s2, s8, s13
	s_add_co_ci_u32 s2, s9, s15
	s_mul_i32 s12, s5, s12
	s_add_co_ci_u32 s13, s14, 0
	s_delay_alu instid0(SALU_CYCLE_1) | instskip(NEXT) | instid1(SALU_CYCLE_1)
	s_add_nc_u64 s[12:13], s[2:3], s[12:13]
	s_mul_u64 s[8:9], s[12:13], 24
	s_wait_alu 0xfffe
	v_sub_co_u32 v1, s2, s4, s8
	s_delay_alu instid0(VALU_DEP_1) | instskip(SKIP_1) | instid1(VALU_DEP_1)
	s_cmp_lg_u32 s2, 0
	s_sub_co_ci_u32 s14, s5, s9
	v_sub_co_u32 v2, s4, v1, 24
	s_delay_alu instid0(VALU_DEP_1) | instskip(SKIP_2) | instid1(VALU_DEP_2)
	s_cmp_lg_u32 s4, 0
	v_readfirstlane_b32 s15, v1
	s_sub_co_ci_u32 s8, s14, 0
	v_readfirstlane_b32 s2, v2
	s_add_nc_u64 s[4:5], s[12:13], 1
	s_delay_alu instid0(VALU_DEP_1)
	s_cmp_gt_u32 s2, 23
	s_cselect_b32 s2, -1, 0
	s_wait_alu 0xfffe
	s_cmp_eq_u32 s8, 0
	s_add_nc_u64 s[8:9], s[12:13], 2
	s_cselect_b32 s2, s2, -1
	s_delay_alu instid0(SALU_CYCLE_1)
	s_cmp_lg_u32 s2, 0
	s_wait_alu 0xfffe
	s_cselect_b32 s2, s8, s4
	s_cselect_b32 s4, s9, s5
	s_cmp_gt_u32 s15, 23
	s_load_b64 s[8:9], s[6:7], 0x0
	s_cselect_b32 s5, -1, 0
	s_cmp_eq_u32 s14, 0
	s_wait_alu 0xfffe
	s_cselect_b32 s5, s5, -1
	s_wait_alu 0xfffe
	s_cmp_lg_u32 s5, 0
	s_cselect_b32 s5, s4, s13
	s_cselect_b32 s4, s2, s12
	s_mov_b32 s2, ttmp9
	s_wait_alu 0xfffe
	s_add_nc_u64 s[12:13], s[4:5], 1
	s_delay_alu instid0(SALU_CYCLE_1) | instskip(NEXT) | instid1(VALU_DEP_1)
	v_cmp_lt_u64_e64 s4, s[2:3], s[12:13]
	s_and_b32 vcc_lo, exec_lo, s4
	s_cbranch_vccnz .LBB0_2
; %bb.1:
	v_cvt_f32_u32_e32 v1, s12
	s_sub_co_i32 s5, 0, s12
	s_mov_b32 s17, s3
	s_delay_alu instid0(VALU_DEP_1) | instskip(NEXT) | instid1(TRANS32_DEP_1)
	v_rcp_iflag_f32_e32 v1, v1
	v_mul_f32_e32 v1, 0x4f7ffffe, v1
	s_delay_alu instid0(VALU_DEP_1) | instskip(NEXT) | instid1(VALU_DEP_1)
	v_cvt_u32_f32_e32 v1, v1
	v_readfirstlane_b32 s4, v1
	s_wait_alu 0xfffe
	s_delay_alu instid0(VALU_DEP_1)
	s_mul_i32 s5, s5, s4
	s_wait_alu 0xfffe
	s_mul_hi_u32 s5, s4, s5
	s_wait_alu 0xfffe
	s_add_co_i32 s4, s4, s5
	s_wait_alu 0xfffe
	s_mul_hi_u32 s4, s2, s4
	s_wait_alu 0xfffe
	s_mul_i32 s5, s4, s12
	s_add_co_i32 s14, s4, 1
	s_wait_alu 0xfffe
	s_sub_co_i32 s5, s2, s5
	s_wait_alu 0xfffe
	s_sub_co_i32 s15, s5, s12
	s_cmp_ge_u32 s5, s12
	s_cselect_b32 s4, s14, s4
	s_cselect_b32 s5, s15, s5
	s_wait_alu 0xfffe
	s_add_co_i32 s14, s4, 1
	s_cmp_ge_u32 s5, s12
	s_cselect_b32 s16, s14, s4
.LBB0_2:
	v_mul_u32_u24_e32 v1, 0xaab, v0
	s_load_b128 s[4:7], s[6:7], 0x8
	s_mul_u64 s[12:13], s[16:17], s[12:13]
	s_wait_alu 0xfffe
	s_sub_nc_u64 s[2:3], s[2:3], s[12:13]
	v_lshrrev_b32_e32 v119, 16, v1
	s_clause 0x1
	s_load_b64 s[14:15], s[0:1], 0x0
	s_load_b64 s[12:13], s[0:1], 0x50
	s_mul_u64 s[20:21], s[2:3], 24
	s_delay_alu instid0(SALU_CYCLE_1)
	s_add_nc_u64 s[2:3], s[20:21], 24
	v_mul_lo_u16 v1, v119, 24
	s_wait_alu 0xfffe
	v_cmp_gt_u64_e64 s19, s[2:3], s[10:11]
	v_cmp_le_u64_e64 s3, s[2:3], s[10:11]
	v_add_nc_u32_e32 v43, 8, v119
	v_or_b32_e32 v120, 16, v119
	v_sub_nc_u16 v1, v0, v1
	v_add_nc_u32_e32 v44, 24, v119
	v_or_b32_e32 v45, 48, v119
	s_and_b32 vcc_lo, exec_lo, s19
	s_delay_alu instid0(VALU_DEP_3) | instskip(SKIP_3) | instid1(SALU_CYCLE_1)
	v_and_b32_e32 v121, 0xffff, v1
	s_wait_kmcnt 0x0
	s_mul_u64 s[22:23], s[20:21], s[4:5]
	s_mul_u64 s[6:7], s[6:7], s[16:17]
	s_add_nc_u64 s[6:7], s[6:7], s[22:23]
	v_add_co_u32 v61, s2, s20, v121
	s_wait_alu 0xf1ff
	v_add_co_ci_u32_e64 v62, null, s21, 0, s2
	s_cbranch_vccnz .LBB0_4
; %bb.3:
	v_mad_co_u64_u32 v[1:2], null, s4, v121, 0
	v_mad_co_u64_u32 v[3:4], null, s8, v119, 0
	v_or_b32_e32 v14, 0x70, v119
	s_lshl_b64 s[16:17], s[6:7], 3
	v_or_b32_e32 v15, 64, v119
	s_add_nc_u64 s[16:17], s[12:13], s[16:17]
	v_or_b32_e32 v83, 16, v119
	v_or_b32_e32 v25, 0x80, v119
	v_mad_co_u64_u32 v[5:6], null, s5, v121, v[2:3]
	v_add_nc_u32_e32 v13, 56, v119
	v_or_b32_e32 v33, 32, v119
	v_or_b32_e32 v29, 0x50, v119
	;; [unrolled: 1-line block ×3, first 2 shown]
	v_add_nc_u32_e32 v30, 0x88, v119
	v_or_b32_e32 v41, 0x60, v119
	v_mov_b32_e32 v2, v5
	v_mad_co_u64_u32 v[6:7], null, s8, v13, 0
	v_mad_co_u64_u32 v[8:9], null, s9, v119, v[4:5]
	v_add_nc_u32_e32 v122, 8, v119
	v_mad_co_u64_u32 v[9:10], null, s8, v14, 0
	v_lshlrev_b64_e32 v[1:2], 3, v[1:2]
	v_mov_b32_e32 v5, v7
	s_delay_alu instid0(VALU_DEP_4) | instskip(SKIP_2) | instid1(VALU_DEP_4)
	v_mad_co_u64_u32 v[11:12], null, s8, v122, 0
	v_mov_b32_e32 v4, v8
	v_mad_co_u64_u32 v[31:32], null, s8, v33, 0
	v_mad_co_u64_u32 v[7:8], null, s9, v13, v[5:6]
	v_mov_b32_e32 v5, v10
	v_add_co_u32 v55, vcc_lo, s16, v1
	v_mov_b32_e32 v1, v12
	v_lshlrev_b64_e32 v[3:4], 3, v[3:4]
	s_delay_alu instid0(VALU_DEP_4) | instskip(SKIP_3) | instid1(VALU_DEP_4)
	v_mad_co_u64_u32 v[12:13], null, s9, v14, v[5:6]
	v_add_co_ci_u32_e32 v56, vcc_lo, s17, v2, vcc_lo
	v_mad_co_u64_u32 v[13:14], null, s8, v15, 0
	v_mad_co_u64_u32 v[35:36], null, s8, v39, 0
	v_mov_b32_e32 v10, v12
	v_mad_co_u64_u32 v[1:2], null, s9, v122, v[1:2]
	v_add_co_u32 v2, vcc_lo, v55, v3
	s_wait_alu 0xfffd
	v_add_co_ci_u32_e32 v3, vcc_lo, v56, v4, vcc_lo
	v_lshlrev_b64_e32 v[4:5], 3, v[6:7]
	v_mad_co_u64_u32 v[27:28], null, s8, v30, 0
	v_dual_mov_b32 v12, v1 :: v_dual_mov_b32 v1, v14
	v_or_b32_e32 v47, 48, v119
	s_delay_alu instid0(VALU_DEP_4)
	v_add_co_u32 v6, vcc_lo, v55, v4
	s_wait_alu 0xfffd
	v_add_co_ci_u32_e32 v7, vcc_lo, v56, v5, vcc_lo
	v_lshlrev_b64_e32 v[4:5], 3, v[9:10]
	v_add_nc_u32_e32 v10, 0x78, v119
	v_lshlrev_b64_e32 v[8:9], 3, v[11:12]
	v_mad_co_u64_u32 v[14:15], null, s9, v15, v[1:2]
	v_mad_co_u64_u32 v[15:16], null, s8, v83, 0
	s_delay_alu instid0(VALU_DEP_4) | instskip(SKIP_3) | instid1(VALU_DEP_4)
	v_mad_co_u64_u32 v[11:12], null, s8, v10, 0
	v_add_co_u32 v17, vcc_lo, v55, v4
	s_wait_alu 0xfffd
	v_add_co_ci_u32_e32 v18, vcc_lo, v56, v5, vcc_lo
	v_mov_b32_e32 v4, v16
	v_add_co_u32 v19, vcc_lo, v55, v8
	v_mov_b32_e32 v1, v12
	s_wait_alu 0xfffd
	v_add_co_ci_u32_e32 v20, vcc_lo, v56, v9, vcc_lo
	v_mad_co_u64_u32 v[48:49], null, s8, v47, 0
	s_delay_alu instid0(VALU_DEP_3)
	v_mad_co_u64_u32 v[21:22], null, s9, v10, v[1:2]
	v_mad_co_u64_u32 v[22:23], null, s9, v83, v[4:5]
	v_add_nc_u32_e32 v23, 0x48, v119
	s_clause 0x3
	global_load_b64 v[3:4], v[2:3], off
	global_load_b64 v[9:10], v[6:7], off
	;; [unrolled: 1-line block ×4, first 2 shown]
	v_lshlrev_b64_e32 v[5:6], 3, v[13:14]
	v_mad_co_u64_u32 v[19:20], null, s8, v25, 0
	v_mad_co_u64_u32 v[13:14], null, s8, v23, 0
	v_mov_b32_e32 v16, v22
	v_mov_b32_e32 v12, v21
	v_add_co_u32 v5, vcc_lo, v55, v5
	s_wait_alu 0xfffd
	v_add_co_ci_u32_e32 v6, vcc_lo, v56, v6, vcc_lo
	v_lshlrev_b64_e32 v[15:16], 3, v[15:16]
	v_or_b32_e32 v58, 0xa0, v119
	v_add_nc_u32_e32 v57, 0x68, v119
	s_delay_alu instid0(VALU_DEP_3) | instskip(NEXT) | instid1(VALU_DEP_1)
	v_mad_co_u64_u32 v[17:18], null, s9, v23, v[14:15]
	v_dual_mov_b32 v14, v17 :: v_dual_mov_b32 v17, v20
	v_lshlrev_b64_e32 v[11:12], 3, v[11:12]
	s_delay_alu instid0(VALU_DEP_2) | instskip(NEXT) | instid1(VALU_DEP_2)
	v_lshlrev_b64_e32 v[13:14], 3, v[13:14]
	v_add_co_u32 v11, vcc_lo, v55, v11
	s_wait_alu 0xfffd
	s_delay_alu instid0(VALU_DEP_3)
	v_add_co_ci_u32_e32 v12, vcc_lo, v56, v12, vcc_lo
	v_add_co_u32 v23, vcc_lo, v55, v15
	s_wait_alu 0xfffd
	v_add_co_ci_u32_e32 v24, vcc_lo, v56, v16, vcc_lo
	v_mad_co_u64_u32 v[16:17], null, s9, v25, v[17:18]
	v_mad_co_u64_u32 v[25:26], null, s8, v29, 0
	v_add_nc_u32_e32 v46, 24, v119
	v_add_co_u32 v13, vcc_lo, v55, v13
	s_wait_alu 0xfffd
	v_add_co_ci_u32_e32 v14, vcc_lo, v56, v14, vcc_lo
	s_delay_alu instid0(VALU_DEP_3) | instskip(NEXT) | instid1(VALU_DEP_1)
	v_mad_co_u64_u32 v[21:22], null, s8, v46, 0
	v_dual_mov_b32 v20, v16 :: v_dual_mov_b32 v15, v22
	s_delay_alu instid0(VALU_DEP_1) | instskip(NEXT) | instid1(VALU_DEP_1)
	v_mad_co_u64_u32 v[17:18], null, s9, v46, v[15:16]
	v_mov_b32_e32 v22, v17
	s_clause 0x3
	global_load_b64 v[17:18], v[5:6], off
	global_load_b64 v[15:16], v[11:12], off
	;; [unrolled: 1-line block ×4, first 2 shown]
	v_lshlrev_b64_e32 v[11:12], 3, v[19:20]
	v_mov_b32_e32 v19, v26
	v_lshlrev_b64_e32 v[20:21], 3, v[21:22]
	v_mov_b32_e32 v22, v28
	s_delay_alu instid0(VALU_DEP_4) | instskip(SKIP_2) | instid1(VALU_DEP_4)
	v_add_co_u32 v11, vcc_lo, v55, v11
	s_wait_alu 0xfffd
	v_add_co_ci_u32_e32 v12, vcc_lo, v56, v12, vcc_lo
	v_mad_co_u64_u32 v[23:24], null, s9, v29, v[19:20]
	v_add_co_u32 v19, vcc_lo, v55, v20
	s_wait_alu 0xfffd
	v_add_co_ci_u32_e32 v20, vcc_lo, v56, v21, vcc_lo
	s_delay_alu instid0(VALU_DEP_3) | instskip(SKIP_2) | instid1(VALU_DEP_3)
	v_dual_mov_b32 v21, v32 :: v_dual_mov_b32 v26, v23
	v_mad_co_u64_u32 v[28:29], null, s9, v30, v[22:23]
	v_add_nc_u32_e32 v29, 0x58, v119
	v_lshlrev_b64_e32 v[22:23], 3, v[25:26]
	s_delay_alu instid0(VALU_DEP_3) | instskip(NEXT) | instid1(VALU_DEP_2)
	v_lshlrev_b64_e32 v[24:25], 3, v[27:28]
	v_mad_co_u64_u32 v[26:27], null, s9, v33, v[21:22]
	s_delay_alu instid0(VALU_DEP_4)
	v_mad_co_u64_u32 v[33:34], null, s8, v29, 0
	v_add_co_u32 v21, vcc_lo, v55, v22
	s_wait_alu 0xfffd
	v_add_co_ci_u32_e32 v22, vcc_lo, v56, v23, vcc_lo
	v_add_co_u32 v23, vcc_lo, v55, v24
	s_wait_alu 0xfffd
	v_add_co_ci_u32_e32 v24, vcc_lo, v56, v25, vcc_lo
	v_dual_mov_b32 v25, v34 :: v_dual_mov_b32 v32, v26
	s_delay_alu instid0(VALU_DEP_1)
	v_mad_co_u64_u32 v[37:38], null, s9, v29, v[25:26]
	s_clause 0x3
	global_load_b64 v[29:30], v[11:12], off
	global_load_b64 v[11:12], v[19:20], off
	;; [unrolled: 1-line block ×4, first 2 shown]
	v_dual_mov_b32 v21, v36 :: v_dual_add_nc_u32 v38, 40, v119
	v_lshlrev_b64_e32 v[19:20], 3, v[31:32]
	s_delay_alu instid0(VALU_DEP_2) | instskip(SKIP_1) | instid1(VALU_DEP_3)
	v_mad_co_u64_u32 v[22:23], null, s8, v38, 0
	v_mov_b32_e32 v34, v37
	v_add_co_u32 v19, vcc_lo, v55, v19
	s_wait_alu 0xfffd
	s_delay_alu instid0(VALU_DEP_4) | instskip(NEXT) | instid1(VALU_DEP_4)
	v_add_co_ci_u32_e32 v20, vcc_lo, v56, v20, vcc_lo
	v_mad_co_u64_u32 v[31:32], null, s9, v39, v[21:22]
	v_mov_b32_e32 v21, v23
	v_lshlrev_b64_e32 v[23:24], 3, v[33:34]
	s_delay_alu instid0(VALU_DEP_3) | instskip(NEXT) | instid1(VALU_DEP_3)
	v_mov_b32_e32 v36, v31
	v_mad_co_u64_u32 v[31:32], null, s9, v38, v[21:22]
	v_mad_co_u64_u32 v[32:33], null, s8, v41, 0
	s_delay_alu instid0(VALU_DEP_4) | instskip(SKIP_2) | instid1(VALU_DEP_4)
	v_add_co_u32 v37, vcc_lo, v55, v23
	s_wait_alu 0xfffd
	v_add_co_ci_u32_e32 v38, vcc_lo, v56, v24, vcc_lo
	v_dual_mov_b32 v23, v31 :: v_dual_add_nc_u32 v24, 0x98, v119
	s_delay_alu instid0(VALU_DEP_4) | instskip(SKIP_1) | instid1(VALU_DEP_3)
	v_mov_b32_e32 v21, v33
	v_lshlrev_b64_e32 v[34:35], 3, v[35:36]
	v_lshlrev_b64_e32 v[22:23], 3, v[22:23]
	s_delay_alu instid0(VALU_DEP_4) | instskip(NEXT) | instid1(VALU_DEP_3)
	v_mad_co_u64_u32 v[39:40], null, s8, v24, 0
	v_add_co_u32 v34, vcc_lo, v55, v34
	s_delay_alu instid0(VALU_DEP_3) | instskip(SKIP_2) | instid1(VALU_DEP_4)
	v_mad_co_u64_u32 v[41:42], null, s9, v41, v[21:22]
	s_wait_alu 0xfffd
	v_add_co_ci_u32_e32 v35, vcc_lo, v56, v35, vcc_lo
	v_mov_b32_e32 v21, v40
	v_add_co_u32 v50, vcc_lo, v55, v22
	s_wait_alu 0xfffd
	v_add_co_ci_u32_e32 v51, vcc_lo, v56, v23, vcc_lo
	v_mov_b32_e32 v33, v41
	v_mad_co_u64_u32 v[23:24], null, s9, v24, v[21:22]
	v_mov_b32_e32 v21, v49
	v_mad_co_u64_u32 v[41:42], null, s8, v57, 0
	s_delay_alu instid0(VALU_DEP_4) | instskip(NEXT) | instid1(VALU_DEP_3)
	v_lshlrev_b64_e32 v[31:32], 3, v[32:33]
	v_mad_co_u64_u32 v[52:53], null, s9, v47, v[21:22]
	v_mad_co_u64_u32 v[53:54], null, s8, v58, 0
	s_delay_alu instid0(VALU_DEP_4)
	v_mov_b32_e32 v24, v42
	v_mov_b32_e32 v40, v23
	s_clause 0x3
	global_load_b64 v[21:22], v[19:20], off
	global_load_b64 v[37:38], v[37:38], off
	;; [unrolled: 1-line block ×4, first 2 shown]
	v_add_co_u32 v31, vcc_lo, v55, v31
	v_mov_b32_e32 v49, v52
	v_lshlrev_b64_e32 v[33:34], 3, v[39:40]
	s_wait_alu 0xfffd
	v_add_co_ci_u32_e32 v32, vcc_lo, v56, v32, vcc_lo
	s_delay_alu instid0(VALU_DEP_3) | instskip(SKIP_3) | instid1(VALU_DEP_1)
	v_lshlrev_b64_e32 v[48:49], 3, v[48:49]
	s_wait_loadcnt 0x4
	v_mad_co_u64_u32 v[23:24], null, s9, v57, v[24:25]
	v_mov_b32_e32 v24, v54
	v_mad_co_u64_u32 v[39:40], null, s9, v58, v[24:25]
	s_delay_alu instid0(VALU_DEP_3) | instskip(SKIP_3) | instid1(VALU_DEP_3)
	v_mov_b32_e32 v42, v23
	v_add_co_u32 v23, vcc_lo, v55, v33
	s_wait_alu 0xfffd
	v_add_co_ci_u32_e32 v24, vcc_lo, v56, v34, vcc_lo
	v_lshlrev_b64_e32 v[33:34], 3, v[41:42]
	v_mov_b32_e32 v54, v39
	v_add_co_u32 v48, vcc_lo, v55, v48
	s_wait_alu 0xfffd
	v_add_co_ci_u32_e32 v49, vcc_lo, v56, v49, vcc_lo
	s_delay_alu instid0(VALU_DEP_3) | instskip(SKIP_3) | instid1(VALU_DEP_3)
	v_lshlrev_b64_e32 v[39:40], 3, v[53:54]
	v_add_co_u32 v33, vcc_lo, v55, v33
	s_wait_alu 0xfffd
	v_add_co_ci_u32_e32 v34, vcc_lo, v56, v34, vcc_lo
	v_add_co_u32 v50, vcc_lo, v55, v39
	s_wait_alu 0xfffd
	v_add_co_ci_u32_e32 v51, vcc_lo, v56, v40, vcc_lo
	s_clause 0x4
	global_load_b64 v[41:42], v[31:32], off
	global_load_b64 v[39:40], v[23:24], off
	;; [unrolled: 1-line block ×5, first 2 shown]
	s_cbranch_execz .LBB0_5
	s_branch .LBB0_10
.LBB0_4:
                                        ; implicit-def: $vgpr31
                                        ; implicit-def: $vgpr33
                                        ; implicit-def: $vgpr23
                                        ; implicit-def: $vgpr39
                                        ; implicit-def: $vgpr41
                                        ; implicit-def: $vgpr19
                                        ; implicit-def: $vgpr35
                                        ; implicit-def: $vgpr37
                                        ; implicit-def: $vgpr21
                                        ; implicit-def: $vgpr25
                                        ; implicit-def: $vgpr27
                                        ; implicit-def: $vgpr11
                                        ; implicit-def: $vgpr29
                                        ; implicit-def: $vgpr13
                                        ; implicit-def: $vgpr5
                                        ; implicit-def: $vgpr15
                                        ; implicit-def: $vgpr17
                                        ; implicit-def: $vgpr1
                                        ; implicit-def: $vgpr7
                                        ; implicit-def: $vgpr9
                                        ; implicit-def: $vgpr3
                                        ; implicit-def: $vgpr122
                                        ; implicit-def: $vgpr83
                                        ; implicit-def: $vgpr46
                                        ; implicit-def: $vgpr47
	s_and_not1_b32 vcc_lo, exec_lo, s18
	s_cbranch_vccnz .LBB0_10
.LBB0_5:
	s_mov_b32 s2, exec_lo
                                        ; implicit-def: $vgpr122
                                        ; implicit-def: $vgpr83
                                        ; implicit-def: $vgpr46
                                        ; implicit-def: $vgpr47
	v_cmpx_le_u64_e64 s[10:11], v[61:62]
	s_wait_alu 0xfffe
	s_xor_b32 s2, exec_lo, s2
; %bb.6:
	v_add_nc_u32_e32 v122, 8, v119
	v_or_b32_e32 v83, 16, v119
	v_add_nc_u32_e32 v46, 24, v119
	v_or_b32_e32 v47, 48, v119
                                        ; implicit-def: $vgpr43
                                        ; implicit-def: $vgpr44
                                        ; implicit-def: $vgpr45
; %bb.7:
	s_wait_alu 0xfffe
	s_or_saveexec_b32 s2, s2
                                        ; implicit-def: $vgpr31
                                        ; implicit-def: $vgpr33
                                        ; implicit-def: $vgpr23
                                        ; implicit-def: $vgpr39
                                        ; implicit-def: $vgpr41
                                        ; implicit-def: $vgpr19
                                        ; implicit-def: $vgpr35
                                        ; implicit-def: $vgpr37
                                        ; implicit-def: $vgpr21
                                        ; implicit-def: $vgpr25
                                        ; implicit-def: $vgpr27
                                        ; implicit-def: $vgpr11
                                        ; implicit-def: $vgpr29
                                        ; implicit-def: $vgpr13
                                        ; implicit-def: $vgpr5
                                        ; implicit-def: $vgpr15
                                        ; implicit-def: $vgpr17
                                        ; implicit-def: $vgpr1
                                        ; implicit-def: $vgpr7
                                        ; implicit-def: $vgpr9
                                        ; implicit-def: $vgpr3
	s_wait_alu 0xfffe
	s_xor_b32 exec_lo, exec_lo, s2
	s_cbranch_execz .LBB0_9
; %bb.8:
	v_mad_co_u64_u32 v[1:2], null, s4, v121, 0
	v_mad_co_u64_u32 v[3:4], null, s8, v119, 0
	v_add_nc_u32_e32 v11, 56, v119
	v_or_b32_e32 v12, 0x70, v119
	s_lshl_b64 s[16:17], s[6:7], 3
	v_or_b32_e32 v15, 64, v119
	s_wait_alu 0xfffe
	s_add_nc_u64 s[16:17], s[12:13], s[16:17]
	v_mad_co_u64_u32 v[5:6], null, s8, v11, 0
	v_mad_co_u64_u32 v[7:8], null, s5, v121, v[2:3]
	;; [unrolled: 1-line block ×3, first 2 shown]
	s_wait_loadcnt 0x8
	v_add_nc_u32_e32 v22, 0x48, v119
	s_wait_loadcnt 0x0
	v_or_b32_e32 v32, 0x50, v119
	v_mad_co_u64_u32 v[8:9], null, s9, v119, v[4:5]
	v_mov_b32_e32 v4, v6
	v_mov_b32_e32 v2, v7
	v_mad_co_u64_u32 v[9:10], null, s8, v12, 0
	v_add_nc_u32_e32 v19, 0x78, v119
	s_delay_alu instid0(VALU_DEP_4) | instskip(SKIP_4) | instid1(VALU_DEP_4)
	v_mad_co_u64_u32 v[6:7], null, s9, v11, v[4:5]
	v_mov_b32_e32 v4, v8
	v_lshlrev_b64_e32 v[1:2], 3, v[1:2]
	v_mad_co_u64_u32 v[7:8], null, s8, v43, 0
	v_mad_co_u64_u32 v[28:29], null, s8, v32, 0
	v_lshlrev_b64_e32 v[3:4], 3, v[3:4]
	s_wait_alu 0xfffe
	s_delay_alu instid0(VALU_DEP_4)
	v_add_co_u32 v55, vcc_lo, s16, v1
	s_wait_alu 0xfffd
	v_add_co_ci_u32_e32 v56, vcc_lo, s17, v2, vcc_lo
	v_mad_co_u64_u32 v[1:2], null, s9, v12, v[10:11]
	v_mov_b32_e32 v2, v8
	v_add_co_u32 v3, vcc_lo, v55, v3
	v_mad_co_u64_u32 v[11:12], null, s8, v15, 0
	v_lshlrev_b64_e32 v[5:6], 3, v[5:6]
	s_delay_alu instid0(VALU_DEP_3)
	v_mad_co_u64_u32 v[13:14], null, s9, v43, v[2:3]
	v_mov_b32_e32 v10, v1
	s_wait_alu 0xfffd
	v_add_co_ci_u32_e32 v4, vcc_lo, v56, v4, vcc_lo
	v_mov_b32_e32 v1, v12
	v_add_co_u32 v5, vcc_lo, v55, v5
	v_mov_b32_e32 v8, v13
	v_lshlrev_b64_e32 v[9:10], 3, v[9:10]
	s_delay_alu instid0(VALU_DEP_4) | instskip(SKIP_1) | instid1(VALU_DEP_4)
	v_mad_co_u64_u32 v[1:2], null, s9, v15, v[1:2]
	v_mad_co_u64_u32 v[15:16], null, s8, v19, 0
	v_lshlrev_b64_e32 v[7:8], 3, v[7:8]
	s_wait_alu 0xfffd
	v_add_co_ci_u32_e32 v6, vcc_lo, v56, v6, vcc_lo
	v_add_co_u32 v13, vcc_lo, v55, v9
	s_wait_alu 0xfffd
	v_add_co_ci_u32_e32 v14, vcc_lo, v56, v10, vcc_lo
	v_mov_b32_e32 v12, v1
	v_add_co_u32 v1, vcc_lo, v55, v7
	s_wait_alu 0xfffd
	v_add_co_ci_u32_e32 v2, vcc_lo, v56, v8, vcc_lo
	v_dual_mov_b32 v7, v16 :: v_dual_mov_b32 v8, v18
	v_lshlrev_b64_e32 v[11:12], 3, v[11:12]
	v_add_nc_u32_e32 v33, 0x88, v119
	v_mad_co_u64_u32 v[24:25], null, s8, v44, 0
	s_delay_alu instid0(VALU_DEP_4)
	v_mad_co_u64_u32 v[18:19], null, s9, v19, v[7:8]
	v_mad_co_u64_u32 v[19:20], null, s9, v120, v[8:9]
	;; [unrolled: 1-line block ×3, first 2 shown]
	s_clause 0x3
	global_load_b64 v[3:4], v[3:4], off
	global_load_b64 v[9:10], v[5:6], off
	;; [unrolled: 1-line block ×4, first 2 shown]
	v_add_co_u32 v5, vcc_lo, v55, v11
	v_mov_b32_e32 v16, v18
	s_wait_alu 0xfffd
	v_add_co_ci_u32_e32 v6, vcc_lo, v56, v12, vcc_lo
	v_dual_mov_b32 v18, v19 :: v_dual_mov_b32 v11, v21
	s_delay_alu instid0(VALU_DEP_3) | instskip(SKIP_2) | instid1(VALU_DEP_4)
	v_lshlrev_b64_e32 v[12:13], 3, v[15:16]
	v_or_b32_e32 v19, 0x80, v119
	v_mad_co_u64_u32 v[30:31], null, s8, v33, 0
	v_lshlrev_b64_e32 v[14:15], 3, v[17:18]
	v_add_nc_u32_e32 v57, 0x68, v119
	v_mad_co_u64_u32 v[16:17], null, s9, v22, v[11:12]
	v_mad_co_u64_u32 v[22:23], null, s8, v19, 0
	v_add_co_u32 v11, vcc_lo, v55, v12
	s_wait_alu 0xfffd
	v_add_co_ci_u32_e32 v12, vcc_lo, v56, v13, vcc_lo
	s_delay_alu instid0(VALU_DEP_4) | instskip(SKIP_3) | instid1(VALU_DEP_3)
	v_mov_b32_e32 v21, v16
	v_add_co_u32 v26, vcc_lo, v55, v14
	s_wait_alu 0xfffd
	v_add_co_ci_u32_e32 v27, vcc_lo, v56, v15, vcc_lo
	v_lshlrev_b64_e32 v[15:16], 3, v[20:21]
	v_dual_mov_b32 v13, v23 :: v_dual_mov_b32 v14, v25
	v_mad_co_u64_u32 v[50:51], null, s8, v57, 0
	v_mad_co_u64_u32 v[46:47], null, s8, v45, 0
	s_delay_alu instid0(VALU_DEP_3) | instskip(SKIP_4) | instid1(VALU_DEP_4)
	v_mad_co_u64_u32 v[17:18], null, s9, v19, v[13:14]
	v_mad_co_u64_u32 v[13:14], null, s9, v44, v[14:15]
	v_add_co_u32 v19, vcc_lo, v55, v15
	s_wait_alu 0xfffd
	v_add_co_ci_u32_e32 v20, vcc_lo, v56, v16, vcc_lo
	v_mov_b32_e32 v23, v17
	v_or_b32_e32 v58, 0xa0, v119
	v_mov_b32_e32 v25, v13
	s_clause 0x3
	global_load_b64 v[17:18], v[5:6], off
	global_load_b64 v[15:16], v[11:12], off
	;; [unrolled: 1-line block ×4, first 2 shown]
	v_mov_b32_e32 v19, v29
	v_lshlrev_b64_e32 v[11:12], 3, v[22:23]
	v_mov_b32_e32 v22, v31
	v_lshlrev_b64_e32 v[20:21], 3, v[24:25]
	v_or_b32_e32 v26, 32, v119
	v_dual_mov_b32 v83, v120 :: v_dual_mov_b32 v122, v43
	v_add_co_u32 v11, vcc_lo, v55, v11
	s_delay_alu instid0(VALU_DEP_4)
	v_mad_co_u64_u32 v[23:24], null, s9, v32, v[19:20]
	s_wait_alu 0xfffd
	v_add_co_ci_u32_e32 v12, vcc_lo, v56, v12, vcc_lo
	v_add_co_u32 v19, vcc_lo, v55, v20
	s_wait_alu 0xfffd
	v_add_co_ci_u32_e32 v20, vcc_lo, v56, v21, vcc_lo
	s_delay_alu instid0(VALU_DEP_4) | instskip(SKIP_2) | instid1(VALU_DEP_3)
	v_mad_co_u64_u32 v[24:25], null, s9, v33, v[22:23]
	v_mad_co_u64_u32 v[32:33], null, s8, v26, 0
	v_mov_b32_e32 v29, v23
	v_mov_b32_e32 v31, v24
	s_delay_alu instid0(VALU_DEP_2) | instskip(NEXT) | instid1(VALU_DEP_4)
	v_lshlrev_b64_e32 v[22:23], 3, v[28:29]
	v_dual_mov_b32 v21, v33 :: v_dual_add_nc_u32 v28, 0x58, v119
	s_delay_alu instid0(VALU_DEP_3) | instskip(SKIP_1) | instid1(VALU_DEP_3)
	v_lshlrev_b64_e32 v[24:25], 3, v[30:31]
	v_or_b32_e32 v31, 0x90, v119
	v_mad_co_u64_u32 v[26:27], null, s9, v26, v[21:22]
	s_delay_alu instid0(VALU_DEP_4)
	v_mad_co_u64_u32 v[34:35], null, s8, v28, 0
	v_add_co_u32 v21, vcc_lo, v55, v22
	s_wait_alu 0xfffd
	v_add_co_ci_u32_e32 v22, vcc_lo, v56, v23, vcc_lo
	v_add_co_u32 v23, vcc_lo, v55, v24
	s_wait_alu 0xfffd
	v_add_co_ci_u32_e32 v24, vcc_lo, v56, v25, vcc_lo
	v_mov_b32_e32 v25, v35
	v_mov_b32_e32 v33, v26
	v_mad_co_u64_u32 v[36:37], null, s8, v31, 0
	s_delay_alu instid0(VALU_DEP_3)
	v_mad_co_u64_u32 v[38:39], null, s9, v28, v[25:26]
	s_clause 0x3
	global_load_b64 v[29:30], v[11:12], off
	global_load_b64 v[11:12], v[19:20], off
	global_load_b64 v[27:28], v[21:22], off
	global_load_b64 v[25:26], v[23:24], off
	v_add_nc_u32_e32 v39, 40, v119
	v_lshlrev_b64_e32 v[19:20], 3, v[32:33]
	v_mov_b32_e32 v21, v37
	s_delay_alu instid0(VALU_DEP_3) | instskip(SKIP_1) | instid1(VALU_DEP_4)
	v_mad_co_u64_u32 v[22:23], null, s8, v39, 0
	v_mov_b32_e32 v35, v38
	v_add_co_u32 v19, vcc_lo, v55, v19
	v_or_b32_e32 v38, 0x60, v119
	s_wait_alu 0xfffd
	v_add_co_ci_u32_e32 v20, vcc_lo, v56, v20, vcc_lo
	v_mad_co_u64_u32 v[31:32], null, s9, v31, v[21:22]
	v_mov_b32_e32 v21, v23
	v_lshlrev_b64_e32 v[23:24], 3, v[34:35]
	s_delay_alu instid0(VALU_DEP_3) | instskip(NEXT) | instid1(VALU_DEP_3)
	v_mov_b32_e32 v37, v31
	v_mad_co_u64_u32 v[31:32], null, s9, v39, v[21:22]
	s_delay_alu instid0(VALU_DEP_3) | instskip(SKIP_3) | instid1(VALU_DEP_4)
	v_add_co_u32 v34, vcc_lo, v55, v23
	v_mad_co_u64_u32 v[32:33], null, s8, v38, 0
	s_wait_alu 0xfffd
	v_add_co_ci_u32_e32 v35, vcc_lo, v56, v24, vcc_lo
	v_dual_mov_b32 v23, v31 :: v_dual_add_nc_u32 v24, 0x98, v119
	v_lshlrev_b64_e32 v[36:37], 3, v[36:37]
	s_delay_alu instid0(VALU_DEP_4) | instskip(NEXT) | instid1(VALU_DEP_3)
	v_mov_b32_e32 v21, v33
	v_mad_co_u64_u32 v[39:40], null, s8, v24, 0
	s_delay_alu instid0(VALU_DEP_4) | instskip(NEXT) | instid1(VALU_DEP_4)
	v_lshlrev_b64_e32 v[22:23], 3, v[22:23]
	v_add_co_u32 v41, vcc_lo, v55, v36
	s_wait_alu 0xfffd
	v_add_co_ci_u32_e32 v42, vcc_lo, v56, v37, vcc_lo
	s_delay_alu instid0(VALU_DEP_3) | instskip(SKIP_4) | instid1(VALU_DEP_3)
	v_mad_co_u64_u32 v[36:37], null, s9, v38, v[21:22]
	v_mov_b32_e32 v21, v40
	v_add_co_u32 v48, vcc_lo, v55, v22
	s_wait_alu 0xfffd
	v_add_co_ci_u32_e32 v49, vcc_lo, v56, v23, vcc_lo
	v_mad_co_u64_u32 v[23:24], null, s9, v24, v[21:22]
	v_dual_mov_b32 v21, v47 :: v_dual_mov_b32 v24, v51
	v_mov_b32_e32 v33, v36
	s_delay_alu instid0(VALU_DEP_2) | instskip(SKIP_2) | instid1(VALU_DEP_4)
	v_mad_co_u64_u32 v[52:53], null, s9, v45, v[21:22]
	v_mad_co_u64_u32 v[53:54], null, s8, v58, 0
	v_mov_b32_e32 v40, v23
	v_lshlrev_b64_e32 v[31:32], 3, v[32:33]
	s_clause 0x3
	global_load_b64 v[21:22], v[19:20], off
	global_load_b64 v[37:38], v[34:35], off
	;; [unrolled: 1-line block ×4, first 2 shown]
	v_mov_b32_e32 v47, v52
	v_lshlrev_b64_e32 v[33:34], 3, v[39:40]
	v_add_co_u32 v31, vcc_lo, v55, v31
	s_wait_alu 0xfffd
	v_add_co_ci_u32_e32 v32, vcc_lo, v56, v32, vcc_lo
	s_wait_loadcnt 0x4
	v_mad_co_u64_u32 v[23:24], null, s9, v57, v[24:25]
	v_mov_b32_e32 v24, v54
	s_delay_alu instid0(VALU_DEP_1) | instskip(NEXT) | instid1(VALU_DEP_3)
	v_mad_co_u64_u32 v[39:40], null, s9, v58, v[24:25]
	v_mov_b32_e32 v51, v23
	v_lshlrev_b64_e32 v[40:41], 3, v[46:47]
	v_add_co_u32 v23, vcc_lo, v55, v33
	s_wait_alu 0xfffd
	v_add_co_ci_u32_e32 v24, vcc_lo, v56, v34, vcc_lo
	v_mov_b32_e32 v54, v39
	v_lshlrev_b64_e32 v[33:34], 3, v[50:51]
	v_add_co_u32 v46, vcc_lo, v55, v40
	s_wait_alu 0xfffd
	v_add_co_ci_u32_e32 v47, vcc_lo, v56, v41, vcc_lo
	v_lshlrev_b64_e32 v[39:40], 3, v[53:54]
	s_delay_alu instid0(VALU_DEP_4) | instskip(SKIP_2) | instid1(VALU_DEP_3)
	v_add_co_u32 v33, vcc_lo, v55, v33
	s_wait_alu 0xfffd
	v_add_co_ci_u32_e32 v34, vcc_lo, v56, v34, vcc_lo
	v_add_co_u32 v48, vcc_lo, v55, v39
	s_wait_alu 0xfffd
	v_add_co_ci_u32_e32 v49, vcc_lo, v56, v40, vcc_lo
	s_clause 0x4
	global_load_b64 v[41:42], v[31:32], off
	global_load_b64 v[39:40], v[23:24], off
	;; [unrolled: 1-line block ×5, first 2 shown]
	v_dual_mov_b32 v46, v44 :: v_dual_mov_b32 v47, v45
.LBB0_9:
	s_or_b32 exec_lo, exec_lo, s2
.LBB0_10:
	v_dual_add_f32 v43, v9, v7 :: v_dual_add_f32 v44, v3, v9
	v_add_f32_e32 v48, v10, v8
	v_dual_sub_f32 v45, v10, v8 :: v_dual_add_f32 v10, v4, v10
	s_delay_alu instid0(VALU_DEP_3) | instskip(NEXT) | instid1(VALU_DEP_3)
	v_fmac_f32_e32 v3, -0.5, v43
	v_dual_add_f32 v49, v17, v15 :: v_dual_fmac_f32 v4, -0.5, v48
	v_add_f32_e32 v43, v44, v7
	v_sub_f32_e32 v7, v9, v7
	s_delay_alu instid0(VALU_DEP_4) | instskip(SKIP_3) | instid1(VALU_DEP_2)
	v_fmamk_f32 v48, v45, 0x3f5db3d7, v3
	v_dual_fmac_f32 v3, 0xbf5db3d7, v45 :: v_dual_add_f32 v44, v10, v8
	v_dual_add_f32 v8, v1, v17 :: v_dual_sub_f32 v9, v18, v16
	v_dual_add_f32 v10, v2, v18 :: v_dual_fmac_f32 v1, -0.5, v49
	v_dual_fmamk_f32 v49, v7, 0xbf5db3d7, v4 :: v_dual_add_f32 v8, v8, v15
	v_dual_fmac_f32 v4, 0x3f5db3d7, v7 :: v_dual_add_f32 v7, v18, v16
	s_delay_alu instid0(VALU_DEP_3) | instskip(SKIP_2) | instid1(VALU_DEP_4)
	v_fmamk_f32 v50, v9, 0x3f5db3d7, v1
	v_fmac_f32_e32 v1, 0xbf5db3d7, v9
	v_dual_add_f32 v18, v13, v29 :: v_dual_add_f32 v9, v10, v16
	v_fmac_f32_e32 v2, -0.5, v7
	v_dual_sub_f32 v7, v17, v15 :: v_dual_sub_f32 v16, v14, v30
	s_delay_alu instid0(VALU_DEP_3) | instskip(SKIP_1) | instid1(VALU_DEP_3)
	v_dual_add_f32 v10, v5, v13 :: v_dual_fmac_f32 v5, -0.5, v18
	v_cmp_gt_u32_e64 s2, 0x78, v0
	v_fmamk_f32 v51, v7, 0xbf5db3d7, v2
	s_delay_alu instid0(VALU_DEP_3) | instskip(SKIP_3) | instid1(VALU_DEP_3)
	v_dual_fmac_f32 v2, 0x3f5db3d7, v7 :: v_dual_add_f32 v15, v10, v29
	v_add_f32_e32 v7, v14, v30
	v_add_f32_e32 v10, v6, v14
	v_dual_add_f32 v14, v27, v25 :: v_dual_fmamk_f32 v17, v16, 0x3f5db3d7, v5
	v_dual_fmac_f32 v5, 0xbf5db3d7, v16 :: v_dual_fmac_f32 v6, -0.5, v7
	s_delay_alu instid0(VALU_DEP_3) | instskip(NEXT) | instid1(VALU_DEP_3)
	v_dual_add_f32 v16, v10, v30 :: v_dual_sub_f32 v7, v13, v29
	v_dual_add_f32 v10, v11, v27 :: v_dual_fmac_f32 v11, -0.5, v14
	v_sub_f32_e32 v14, v28, v26
	s_mov_b32 s16, 0
	s_delay_alu instid0(VALU_DEP_2) | instskip(SKIP_1) | instid1(VALU_DEP_3)
	v_dual_fmamk_f32 v18, v7, 0xbf5db3d7, v6 :: v_dual_add_f32 v13, v10, v25
	v_dual_fmac_f32 v6, 0x3f5db3d7, v7 :: v_dual_add_f32 v7, v28, v26
	v_dual_fmamk_f32 v29, v14, 0x3f5db3d7, v11 :: v_dual_add_f32 v10, v12, v28
	s_wait_loadcnt 0x6
	v_dual_fmac_f32 v11, 0xbf5db3d7, v14 :: v_dual_add_f32 v28, v37, v35
	s_delay_alu instid0(VALU_DEP_3) | instskip(NEXT) | instid1(VALU_DEP_3)
	v_dual_fmac_f32 v12, -0.5, v7 :: v_dual_sub_f32 v7, v27, v25
	v_add_f32_e32 v14, v10, v26
	s_delay_alu instid0(VALU_DEP_3) | instskip(SKIP_1) | instid1(VALU_DEP_4)
	v_dual_add_f32 v10, v21, v37 :: v_dual_fmac_f32 v21, -0.5, v28
	v_sub_f32_e32 v26, v38, v36
	v_fmamk_f32 v30, v7, 0xbf5db3d7, v12
	v_dual_fmac_f32 v12, 0x3f5db3d7, v7 :: v_dual_add_f32 v7, v38, v36
	s_delay_alu instid0(VALU_DEP_4)
	v_add_f32_e32 v25, v10, v35
	s_wait_loadcnt 0x3
	v_add_f32_e32 v28, v41, v39
	v_add_f32_e32 v10, v22, v38
	;; [unrolled: 1-line block ×3, first 2 shown]
	v_fmac_f32_e32 v22, -0.5, v7
	v_sub_f32_e32 v7, v37, v35
	v_fmamk_f32 v27, v26, 0x3f5db3d7, v21
	v_dual_fmac_f32 v21, 0xbf5db3d7, v26 :: v_dual_add_f32 v26, v10, v36
	v_sub_f32_e32 v36, v42, v40
	v_dual_add_f32 v10, v19, v41 :: v_dual_fmac_f32 v19, -0.5, v28
	s_delay_alu instid0(VALU_DEP_1) | instskip(SKIP_1) | instid1(VALU_DEP_3)
	v_fmamk_f32 v37, v36, 0x3f5db3d7, v19
	v_dual_fmac_f32 v19, 0xbf5db3d7, v36 :: v_dual_fmamk_f32 v28, v7, 0xbf5db3d7, v22
	v_add_f32_e32 v35, v10, v39
	s_wait_loadcnt 0x1
	v_dual_sub_f32 v10, v41, v39 :: v_dual_add_f32 v39, v23, v33
	s_wait_loadcnt 0x0
	v_add_f32_e32 v41, v33, v31
	v_dual_fmac_f32 v22, 0x3f5db3d7, v7 :: v_dual_add_f32 v7, v20, v42
	s_delay_alu instid0(VALU_DEP_3) | instskip(NEXT) | instid1(VALU_DEP_3)
	v_dual_fmac_f32 v20, -0.5, v38 :: v_dual_add_f32 v39, v39, v31
	v_fmac_f32_e32 v23, -0.5, v41
	v_mul_u32_u24_e32 v41, 0x240, v119
	s_delay_alu instid0(VALU_DEP_4)
	v_add_f32_e32 v36, v7, v40
	v_dual_sub_f32 v40, v34, v32 :: v_dual_lshlrev_b32 v7, 3, v121
	v_fmamk_f32 v38, v10, 0xbf5db3d7, v20
	v_fmac_f32_e32 v20, 0x3f5db3d7, v10
	v_add_f32_e32 v10, v34, v32
	v_add_f32_e32 v34, v24, v34
	v_mul_i32_i24_e32 v42, 0x240, v46
	s_delay_alu instid0(VALU_DEP_3)
	v_fmac_f32_e32 v24, -0.5, v10
	v_dual_sub_f32 v10, v33, v31 :: v_dual_fmamk_f32 v31, v40, 0x3f5db3d7, v23
	v_fmac_f32_e32 v23, 0xbf5db3d7, v40
	v_add3_u32 v33, 0, v41, v7
	v_add_f32_e32 v40, v34, v32
	v_mul_i32_i24_e32 v34, 0x240, v122
	v_mul_lo_u16 v41, 0x56, v119
	v_fmamk_f32 v32, v10, 0xbf5db3d7, v24
	v_fmac_f32_e32 v24, 0x3f5db3d7, v10
	v_mul_i32_i24_e32 v10, 0x240, v83
	v_add3_u32 v34, 0, v34, v7
	ds_store_b64 v33, v[3:4] offset:384
	v_lshrrev_b16 v3, 8, v41
	ds_store_2addr_b64 v33, v[43:44], v[48:49] offset1:24
	v_add3_u32 v4, 0, v10, v7
	ds_store_2addr_b64 v34, v[8:9], v[50:51] offset1:24
	ds_store_b64 v34, v[1:2] offset:384
	ds_store_2addr_b64 v4, v[15:16], v[17:18] offset1:24
	v_mul_lo_u16 v1, v3, 3
	v_add3_u32 v52, 0, v42, v7
	v_add_nc_u32_e32 v2, 0x4800, v33
	ds_store_b64 v4, v[5:6] offset:384
	ds_store_2addr_b64 v52, v[13:14], v[29:30] offset1:24
	v_sub_nc_u16 v1, v119, v1
	v_add_nc_u32_e32 v4, 0x5800, v33
	ds_store_b64 v52, v[11:12] offset:384
	v_mul_i32_i24_e32 v5, 0x240, v47
	ds_store_2addr_b64 v2, v[25:26], v[27:28] offset1:24
	ds_store_2addr_b64 v4, v[35:36], v[37:38] offset0:64 offset1:88
	v_and_b32_e32 v1, 0xff, v1
	ds_store_b64 v33, v[21:22] offset:18816
	ds_store_b64 v33, v[19:20] offset:23424
	v_add3_u32 v12, 0, v5, v7
	ds_store_2addr_b64 v12, v[39:40], v[31:32] offset1:24
	ds_store_b64 v12, v[23:24] offset:384
	v_mul_u32_u24_e32 v2, 6, v1
	global_wb scope:SCOPE_SE
	s_wait_dscnt 0x0
	s_barrier_signal -1
	s_barrier_wait -1
	global_inv scope:SCOPE_SE
	v_lshlrev_b32_e32 v5, 3, v2
	v_and_b32_e32 v13, 0xff, v83
	v_mad_i32_i24 v12, 0xfffffe80, v47, v12
	v_mul_i32_i24_e32 v17, 0xc0, v122
	v_and_b32_e32 v3, 0xffff, v3
	s_clause 0x1
	global_load_b128 v[8:11], v5, s[14:15]
	global_load_b128 v[18:21], v5, s[14:15] offset:16
	v_and_b32_e32 v14, 0xff, v122
	v_mul_lo_u16 v6, 0xab, v13
	global_load_b128 v[22:25], v5, s[14:15] offset:32
	v_add3_u32 v17, 0, v17, v7
	v_mad_u32_u24 v1, v3, 21, v1
	v_mul_lo_u16 v4, 0xab, v14
	s_delay_alu instid0(VALU_DEP_2) | instskip(NEXT) | instid1(VALU_DEP_2)
	v_mul_u32_u24_e32 v1, 0xc0, v1
	v_lshrrev_b16 v2, 9, v4
	s_delay_alu instid0(VALU_DEP_2) | instskip(NEXT) | instid1(VALU_DEP_2)
	v_add3_u32 v1, 0, v1, v7
	v_mul_lo_u16 v4, v2, 3
	v_and_b32_e32 v2, 0xffff, v2
	s_delay_alu instid0(VALU_DEP_2) | instskip(SKIP_1) | instid1(VALU_DEP_2)
	v_sub_nc_u16 v15, v122, v4
	v_lshrrev_b16 v4, 9, v6
	v_and_b32_e32 v5, 0xff, v15
	s_delay_alu instid0(VALU_DEP_2) | instskip(SKIP_2) | instid1(VALU_DEP_4)
	v_mul_lo_u16 v6, v4, 3
	v_and_b32_e32 v3, 0xffff, v4
	v_add_nc_u32_e32 v4, 0x800, v1
	v_mul_u32_u24_e32 v15, 6, v5
	s_delay_alu instid0(VALU_DEP_4) | instskip(SKIP_1) | instid1(VALU_DEP_3)
	v_sub_nc_u16 v6, v83, v6
	v_mad_u32_u24 v2, v2, 21, v5
	v_lshlrev_b32_e32 v15, 3, v15
	s_delay_alu instid0(VALU_DEP_3) | instskip(NEXT) | instid1(VALU_DEP_3)
	v_and_b32_e32 v6, 0xff, v6
	v_mul_u32_u24_e32 v2, 0xc0, v2
	s_clause 0x1
	global_load_b128 v[26:29], v15, s[14:15]
	global_load_b128 v[30:33], v15, s[14:15] offset:16
	v_mul_u32_u24_e32 v16, 6, v6
	v_add3_u32 v2, 0, v2, v7
	s_delay_alu instid0(VALU_DEP_2)
	v_lshlrev_b32_e32 v16, 3, v16
	s_clause 0x3
	global_load_b128 v[34:37], v15, s[14:15] offset:32
	global_load_b128 v[38:41], v16, s[14:15]
	global_load_b128 v[42:45], v16, s[14:15] offset:16
	global_load_b128 v[48:51], v16, s[14:15] offset:32
	v_mul_u32_u24_e32 v15, 0xc0, v119
	v_mad_i32_i24 v16, 0xfffffe80, v46, v52
	s_delay_alu instid0(VALU_DEP_2)
	v_add3_u32 v15, 0, v15, v7
	ds_load_b64 v[46:47], v16
	ds_load_b64 v[88:89], v12
	ds_load_2addr_stride64_b64 v[52:55], v15 offset0:24 offset1:27
	v_mul_i32_i24_e32 v12, 0xc0, v83
	ds_load_2addr_stride64_b64 v[56:59], v15 offset0:36 offset1:39
	ds_load_2addr_stride64_b64 v[63:66], v15 offset0:42 offset1:45
	;; [unrolled: 1-line block ×3, first 2 shown]
	v_add3_u32 v16, 0, v12, v7
	ds_load_2addr_stride64_b64 v[71:74], v15 offset1:12
	ds_load_2addr_stride64_b64 v[75:78], v15 offset0:15 offset1:21
	ds_load_2addr_stride64_b64 v[79:82], v15 offset0:30 offset1:33
	;; [unrolled: 1-line block ×3, first 2 shown]
	ds_load_b64 v[90:91], v17
	ds_load_b64 v[92:93], v16
	ds_load_b64 v[94:95], v15 offset:30720
	global_wb scope:SCOPE_SE
	s_wait_loadcnt_dscnt 0x0
	s_barrier_signal -1
	s_barrier_wait -1
	global_inv scope:SCOPE_SE
	v_mul_f32_e32 v97, v57, v21
	v_dual_mul_f32 v21, v56, v21 :: v_dual_mul_f32 v98, v66, v23
	v_mul_f32_e32 v23, v65, v23
	v_mul_f32_e32 v60, v89, v11
	;; [unrolled: 1-line block ×9, first 2 shown]
	v_fmac_f32_e32 v19, v55, v18
	v_fma_f32 v12, v8, v46, -v12
	v_fmac_f32_e32 v9, v8, v47
	v_fmac_f32_e32 v11, v89, v10
	;; [unrolled: 1-line block ×4, first 2 shown]
	v_fma_f32 v8, v88, v10, -v60
	v_fma_f32 v10, v54, v18, -v96
	;; [unrolled: 1-line block ×5, first 2 shown]
	v_fmac_f32_e32 v25, v68, v24
	v_mad_u32_u24 v3, v3, 21, v6
	s_delay_alu instid0(VALU_DEP_1) | instskip(NEXT) | instid1(VALU_DEP_1)
	v_mul_u32_u24_e32 v3, 0xc0, v3
	v_add3_u32 v3, 0, v3, v7
	v_mul_f32_e32 v24, v74, v27
	v_dual_mul_f32 v27, v73, v27 :: v_dual_mul_f32 v46, v78, v29
	v_dual_mul_f32 v29, v77, v29 :: v_dual_mul_f32 v54, v80, v31
	v_mul_f32_e32 v47, v59, v33
	v_mul_f32_e32 v33, v58, v33
	;; [unrolled: 1-line block ×3, first 2 shown]
	v_dual_mul_f32 v55, v70, v37 :: v_dual_mul_f32 v56, v85, v35
	v_mul_f32_e32 v35, v84, v35
	v_mul_f32_e32 v57, v76, v39
	v_dual_mul_f32 v60, v75, v39 :: v_dual_mul_f32 v37, v69, v37
	v_mul_f32_e32 v39, v53, v41
	v_mul_f32_e32 v65, v52, v41
	;; [unrolled: 1-line block ×3, first 2 shown]
	v_dual_mul_f32 v43, v81, v43 :: v_dual_mul_f32 v66, v64, v45
	v_mul_f32_e32 v45, v63, v45
	v_mul_f32_e32 v68, v95, v51
	v_fma_f32 v24, v73, v26, -v24
	v_fmac_f32_e32 v29, v78, v28
	v_fmac_f32_e32 v33, v59, v32
	;; [unrolled: 1-line block ×4, first 2 shown]
	v_fma_f32 v26, v77, v28, -v46
	v_fma_f32 v28, v58, v32, -v47
	;; [unrolled: 1-line block ×5, first 2 shown]
	v_fmac_f32_e32 v60, v76, v38
	v_add_f32_e32 v38, v9, v25
	v_sub_f32_e32 v9, v9, v25
	v_fmac_f32_e32 v37, v70, v36
	v_fma_f32 v36, v84, v34, -v56
	v_add_f32_e32 v25, v11, v23
	v_sub_f32_e32 v11, v11, v23
	v_fmac_f32_e32 v35, v85, v34
	v_add_f32_e32 v34, v12, v22
	v_sub_f32_e32 v12, v12, v22
	v_add_f32_e32 v22, v8, v20
	v_sub_f32_e32 v8, v8, v20
	v_add_f32_e32 v20, v10, v18
	v_dual_sub_f32 v10, v18, v10 :: v_dual_mul_f32 v67, v87, v49
	v_dual_sub_f32 v18, v21, v19 :: v_dual_mul_f32 v49, v86, v49
	v_mul_f32_e32 v51, v94, v51
	v_fma_f32 v47, v52, v40, -v39
	v_fma_f32 v52, v81, v42, -v41
	v_add_f32_e32 v41, v10, v8
	v_add_f32_e32 v23, v19, v21
	v_dual_fmac_f32 v65, v53, v40 :: v_dual_sub_f32 v54, v18, v11
	v_add_f32_e32 v19, v22, v34
	v_dual_sub_f32 v40, v25, v38 :: v_dual_fmac_f32 v49, v87, v48
	v_dual_sub_f32 v53, v10, v8 :: v_dual_sub_f32 v10, v12, v10
	v_sub_f32_e32 v55, v8, v12
	v_sub_f32_e32 v39, v22, v34
	;; [unrolled: 1-line block ×4, first 2 shown]
	v_fmac_f32_e32 v51, v95, v50
	v_add_f32_e32 v8, v24, v30
	v_sub_f32_e32 v24, v24, v30
	v_add_f32_e32 v30, v26, v36
	v_dual_sub_f32 v26, v26, v36 :: v_dual_add_f32 v21, v25, v38
	v_add_f32_e32 v12, v41, v12
	v_dual_fmac_f32 v45, v64, v44 :: v_dual_sub_f32 v38, v38, v23
	v_sub_f32_e32 v25, v23, v25
	v_dual_add_f32 v36, v31, v33 :: v_dual_fmac_f32 v43, v82, v42
	v_fma_f32 v42, v63, v44, -v66
	v_fma_f32 v44, v86, v48, -v67
	;; [unrolled: 1-line block ×3, first 2 shown]
	v_add_f32_e32 v50, v18, v11
	v_sub_f32_e32 v18, v9, v18
	v_add_f32_e32 v56, v27, v37
	v_dual_sub_f32 v27, v27, v37 :: v_dual_sub_f32 v58, v30, v8
	v_add_f32_e32 v37, v29, v35
	v_sub_f32_e32 v29, v29, v35
	v_sub_f32_e32 v31, v33, v31
	v_add_f32_e32 v35, v32, v28
	v_dual_sub_f32 v28, v28, v32 :: v_dual_sub_f32 v11, v11, v9
	v_dual_add_f32 v19, v20, v19 :: v_dual_mul_f32 v32, 0x3f4a47b2, v38
	v_dual_mul_f32 v41, 0xbf08b237, v54 :: v_dual_add_f32 v54, v30, v8
	s_delay_alu instid0(VALU_DEP_3)
	v_dual_add_f32 v57, v37, v56 :: v_dual_add_f32 v64, v28, v26
	v_mul_f32_e32 v38, 0xbf08b237, v53
	v_dual_add_f32 v20, v23, v21 :: v_dual_mul_f32 v23, 0x3f4a47b2, v34
	v_dual_mul_f32 v34, 0x3d64c772, v25 :: v_dual_sub_f32 v67, v28, v26
	v_sub_f32_e32 v28, v24, v28
	v_sub_f32_e32 v26, v26, v24
	v_dual_sub_f32 v68, v31, v29 :: v_dual_mul_f32 v53, 0x3f5ff5aa, v11
	v_sub_f32_e32 v63, v8, v35
	v_sub_f32_e32 v59, v37, v56
	;; [unrolled: 1-line block ×3, first 2 shown]
	v_dual_sub_f32 v30, v35, v30 :: v_dual_sub_f32 v37, v36, v37
	v_dual_add_f32 v66, v31, v29 :: v_dual_mul_f32 v33, 0x3d64c772, v22
	v_fmamk_f32 v25, v25, 0x3d64c772, v32
	v_fma_f32 v34, 0x3f3bfb3b, v40, -v34
	v_fma_f32 v32, 0xbf3bfb3b, v40, -v32
	v_fmamk_f32 v40, v18, 0x3eae86e6, v41
	v_fma_f32 v53, 0xbeae86e6, v18, -v53
	v_dual_add_f32 v18, v35, v54 :: v_dual_add_f32 v35, v36, v57
	v_add_f32_e32 v36, v64, v24
	v_fmamk_f32 v22, v22, 0x3d64c772, v23
	v_dual_add_f32 v21, v50, v9 :: v_dual_add_f32 v8, v19, v71
	v_mul_f32_e32 v50, 0x3f5ff5aa, v55
	v_sub_f32_e32 v29, v29, v27
	v_add_f32_e32 v9, v20, v72
	v_fma_f32 v23, 0xbf3bfb3b, v39, -v23
	v_add_f32_e32 v54, v66, v27
	v_fma_f32 v50, 0xbeae86e6, v10, -v50
	v_fma_f32 v33, 0x3f3bfb3b, v39, -v33
	v_mul_f32_e32 v64, 0x3f5ff5aa, v26
	v_fmamk_f32 v19, v19, 0xbf955555, v8
	v_fmamk_f32 v39, v10, 0x3eae86e6, v38
	v_fma_f32 v38, 0x3f5ff5aa, v55, -v38
	v_fmac_f32_e32 v40, 0x3ee1c552, v21
	v_mul_f32_e32 v66, 0x3f5ff5aa, v29
	v_mul_f32_e32 v57, 0xbf08b237, v67
	v_dual_fmac_f32 v50, 0x3ee1c552, v12 :: v_dual_fmac_f32 v53, 0x3ee1c552, v21
	v_dual_add_f32 v10, v18, v90 :: v_dual_sub_f32 v31, v27, v31
	v_fmamk_f32 v20, v20, 0xbf955555, v9
	v_mul_f32_e32 v27, 0x3f4a47b2, v56
	v_mul_f32_e32 v56, 0x3d64c772, v37
	v_mul_f32_e32 v24, 0x3f4a47b2, v63
	v_mul_f32_e32 v55, 0x3d64c772, v30
	v_fmac_f32_e32 v39, 0x3ee1c552, v12
	v_fmac_f32_e32 v38, 0x3ee1c552, v12
	v_fma_f32 v64, 0xbeae86e6, v28, -v64
	v_fmamk_f32 v12, v30, 0x3d64c772, v24
	v_fmamk_f32 v30, v37, 0x3d64c772, v27
	v_fma_f32 v37, 0x3f3bfb3b, v58, -v55
	v_fma_f32 v55, 0x3f3bfb3b, v59, -v56
	;; [unrolled: 1-line block ×4, first 2 shown]
	v_dual_fmamk_f32 v59, v28, 0x3eae86e6, v57 :: v_dual_add_f32 v28, v22, v19
	v_fma_f32 v41, 0x3f5ff5aa, v11, -v41
	v_add_f32_e32 v24, v33, v19
	v_add_f32_e32 v11, v35, v91
	v_fma_f32 v66, 0xbeae86e6, v31, -v66
	v_add_f32_e32 v27, v32, v20
	v_fmac_f32_e32 v41, 0x3ee1c552, v21
	v_mul_f32_e32 v63, 0xbf08b237, v68
	v_fmamk_f32 v32, v35, 0xbf955555, v11
	v_fmac_f32_e32 v66, 0x3ee1c552, v54
	v_fmac_f32_e32 v64, 0x3ee1c552, v36
	s_delay_alu instid0(VALU_DEP_4)
	v_dual_sub_f32 v22, v24, v41 :: v_dual_fmamk_f32 v67, v31, 0x3eae86e6, v63
	v_fmamk_f32 v31, v18, 0xbf955555, v10
	v_fma_f32 v63, 0x3f5ff5aa, v29, -v63
	v_add_f32_e32 v18, v40, v28
	v_fma_f32 v57, 0x3f5ff5aa, v26, -v57
	v_sub_f32_e32 v28, v28, v40
	v_add_f32_e32 v24, v41, v24
	v_dual_add_f32 v26, v23, v19 :: v_dual_add_f32 v29, v25, v20
	v_dual_add_f32 v25, v34, v20 :: v_dual_add_f32 v12, v12, v31
	v_fmac_f32_e32 v67, 0x3ee1c552, v54
	s_delay_alu instid0(VALU_DEP_3) | instskip(NEXT) | instid1(VALU_DEP_4)
	v_add_f32_e32 v20, v53, v26
	v_dual_sub_f32 v26, v26, v53 :: v_dual_sub_f32 v19, v29, v39
	v_add_f32_e32 v29, v39, v29
	v_add_f32_e32 v41, v30, v32
	;; [unrolled: 1-line block ×3, first 2 shown]
	v_fmac_f32_e32 v57, 0x3ee1c552, v36
	v_dual_fmac_f32 v63, 0x3ee1c552, v54 :: v_dual_add_f32 v30, v67, v12
	v_add_f32_e32 v37, v37, v31
	v_add_f32_e32 v23, v38, v25
	v_dual_sub_f32 v25, v25, v38 :: v_dual_add_f32 v38, v55, v32
	v_add_f32_e32 v39, v56, v31
	v_sub_f32_e32 v21, v27, v50
	v_add_f32_e32 v27, v50, v27
	v_dual_fmac_f32 v59, 0x3ee1c552, v36 :: v_dual_sub_f32 v34, v37, v63
	s_delay_alu instid0(VALU_DEP_4)
	v_add_f32_e32 v32, v66, v39
	v_add_f32_e32 v36, v63, v37
	;; [unrolled: 1-line block ×3, first 2 shown]
	v_dual_add_f32 v54, v43, v45 :: v_dual_sub_f32 v43, v45, v43
	v_add_f32_e32 v35, v57, v38
	v_add_f32_e32 v53, v65, v49
	v_sub_f32_e32 v33, v40, v64
	v_dual_sub_f32 v37, v38, v57 :: v_dual_sub_f32 v38, v39, v66
	v_add_f32_e32 v39, v64, v40
	v_sub_f32_e32 v40, v12, v67
	v_add_f32_e32 v12, v46, v48
	v_sub_f32_e32 v46, v46, v48
	v_dual_sub_f32 v48, v60, v51 :: v_dual_add_f32 v51, v47, v44
	v_dual_sub_f32 v44, v47, v44 :: v_dual_sub_f32 v47, v65, v49
	v_dual_add_f32 v49, v52, v42 :: v_dual_sub_f32 v42, v42, v52
	v_sub_f32_e32 v31, v41, v59
	v_add_f32_e32 v41, v59, v41
	ds_store_2addr_b64 v1, v[8:9], v[18:19] offset1:72
	ds_store_2addr_b64 v1, v[20:21], v[22:23] offset0:144 offset1:216
	ds_store_2addr_b64 v4, v[24:25], v[26:27] offset0:32 offset1:104
	v_dual_add_f32 v57, v42, v44 :: v_dual_add_nc_u32 v18, 64, v15
	v_dual_sub_f32 v59, v42, v44 :: v_dual_sub_f32 v44, v44, v46
	v_add_f32_e32 v45, v51, v12
	v_sub_f32_e32 v63, v46, v42
	s_delay_alu instid0(VALU_DEP_4) | instskip(NEXT) | instid1(VALU_DEP_3)
	v_dual_add_f32 v46, v57, v46 :: v_dual_sub_f32 v55, v51, v12
	v_dual_add_f32 v45, v49, v45 :: v_dual_add_nc_u32 v4, 0x800, v2
                                        ; implicit-def: $vgpr78
                                        ; implicit-def: $vgpr74
                                        ; implicit-def: $vgpr76
	s_delay_alu instid0(VALU_DEP_1) | instskip(SKIP_1) | instid1(VALU_DEP_1)
	v_add_f32_e32 v42, v45, v92
	v_sub_f32_e32 v12, v12, v49
	v_mul_f32_e32 v12, 0x3f4a47b2, v12
	v_sub_f32_e32 v60, v43, v47
	v_add_f32_e32 v52, v53, v50
	v_dual_sub_f32 v56, v53, v50 :: v_dual_sub_f32 v53, v54, v53
	v_dual_sub_f32 v50, v50, v54 :: v_dual_sub_f32 v51, v49, v51
	s_delay_alu instid0(VALU_DEP_3) | instskip(NEXT) | instid1(VALU_DEP_3)
	v_dual_add_f32 v58, v43, v47 :: v_dual_add_f32 v49, v54, v52
	v_mul_f32_e32 v54, 0x3d64c772, v53
	v_sub_f32_e32 v64, v48, v43
	s_delay_alu instid0(VALU_DEP_4) | instskip(SKIP_1) | instid1(VALU_DEP_4)
	v_mul_f32_e32 v50, 0x3f4a47b2, v50
	v_dual_mul_f32 v52, 0x3d64c772, v51 :: v_dual_fmamk_f32 v51, v51, 0x3d64c772, v12
	v_fma_f32 v54, 0x3f3bfb3b, v56, -v54
	v_sub_f32_e32 v47, v47, v48
	v_add_f32_e32 v48, v58, v48
	v_mul_f32_e32 v58, 0xbf08b237, v60
	v_fmamk_f32 v53, v53, 0x3d64c772, v50
	v_fma_f32 v50, 0xbf3bfb3b, v56, -v50
	v_fma_f32 v52, 0x3f3bfb3b, v55, -v52
	;; [unrolled: 1-line block ×3, first 2 shown]
	v_fmamk_f32 v56, v64, 0x3eae86e6, v58
	ds_store_b64 v1, v[28:29] offset:3456
	ds_store_2addr_b64 v2, v[10:11], v[30:31] offset1:72
	ds_store_2addr_b64 v2, v[32:33], v[34:35] offset0:144 offset1:216
	v_add_nc_u32_e32 v1, 0x800, v3
	v_fmac_f32_e32 v56, 0x3ee1c552, v48
	v_fmamk_f32 v45, v45, 0xbf955555, v42
	s_delay_alu instid0(VALU_DEP_1) | instskip(NEXT) | instid1(VALU_DEP_1)
	v_dual_mul_f32 v57, 0xbf08b237, v59 :: v_dual_add_f32 v12, v12, v45
	v_dual_fmamk_f32 v55, v63, 0x3eae86e6, v57 :: v_dual_add_f32 v52, v52, v45
	v_add_f32_e32 v43, v49, v93
	v_fma_f32 v57, 0x3f5ff5aa, v44, -v57
	s_delay_alu instid0(VALU_DEP_3) | instskip(NEXT) | instid1(VALU_DEP_3)
	v_fmac_f32_e32 v55, 0x3ee1c552, v46
	v_fmamk_f32 v49, v49, 0xbf955555, v43
	s_delay_alu instid0(VALU_DEP_3) | instskip(NEXT) | instid1(VALU_DEP_2)
	v_fmac_f32_e32 v57, 0x3ee1c552, v46
	v_add_f32_e32 v53, v53, v49
	s_delay_alu instid0(VALU_DEP_1) | instskip(SKIP_4) | instid1(VALU_DEP_4)
	v_add_f32_e32 v72, v55, v53
	v_add_f32_e32 v54, v54, v49
	v_mul_f32_e32 v60, 0x3f5ff5aa, v47
	v_fma_f32 v47, 0x3f5ff5aa, v47, -v58
	v_add_f32_e32 v49, v50, v49
	v_sub_f32_e32 v70, v54, v57
	v_add_f32_e32 v51, v51, v45
	v_mul_f32_e32 v59, 0x3f5ff5aa, v44
	v_fmac_f32_e32 v47, 0x3ee1c552, v48
	v_sub_f32_e32 v45, v53, v55
	v_add_f32_e32 v66, v57, v54
	v_add_f32_e32 v44, v56, v51
	v_fma_f32 v58, 0xbeae86e6, v63, -v59
	v_fma_f32 v59, 0xbeae86e6, v64, -v60
	v_sub_f32_e32 v65, v52, v47
	v_add_f32_e32 v69, v47, v52
	s_delay_alu instid0(VALU_DEP_4) | instskip(NEXT) | instid1(VALU_DEP_1)
	v_dual_sub_f32 v71, v51, v56 :: v_dual_fmac_f32 v58, 0x3ee1c552, v46
	v_dual_fmac_f32 v59, 0x3ee1c552, v48 :: v_dual_sub_f32 v64, v49, v58
	s_delay_alu instid0(VALU_DEP_1)
	v_add_f32_e32 v63, v59, v12
	v_dual_sub_f32 v67, v12, v59 :: v_dual_add_f32 v68, v58, v49
	ds_store_2addr_b64 v4, v[36:37], v[38:39] offset0:32 offset1:104
	ds_store_b64 v2, v[40:41] offset:3456
	ds_store_2addr_b64 v3, v[42:43], v[44:45] offset1:72
	ds_store_2addr_b64 v3, v[63:64], v[65:66] offset0:144 offset1:216
	ds_store_2addr_b64 v1, v[69:70], v[67:68] offset0:32 offset1:104
	ds_store_b64 v3, v[71:72] offset:3456
	v_add_nc_u32_e32 v1, 0x1c0, v15
	v_add_nc_u32_e32 v2, 0x180, v15
	global_wb scope:SCOPE_SE
	s_wait_dscnt 0x0
	s_barrier_signal -1
	s_barrier_wait -1
	global_inv scope:SCOPE_SE
	ds_load_2addr_stride64_b64 v[37:40], v1 offset0:7 offset1:10
	ds_load_2addr_stride64_b64 v[33:36], v2 offset0:15 offset1:18
	v_add_nc_u32_e32 v2, 0x100, v15
	v_add_nc_u32_e32 v1, 0x140, v15
	;; [unrolled: 1-line block ×4, first 2 shown]
	ds_load_2addr_stride64_b64 v[29:32], v1 offset0:23 offset1:26
	ds_load_2addr_stride64_b64 v[21:24], v2 offset0:31 offset1:34
	ds_load_2addr_stride64_b64 v[9:12], v3 offset0:39 offset1:42
	ds_load_2addr_stride64_b64 v[5:8], v4 offset0:47 offset1:50
	ds_load_2addr_stride64_b64 v[1:4], v18 offset0:55 offset1:58
	ds_load_b64 v[81:82], v15
	ds_load_b64 v[79:80], v17
	s_and_saveexec_b32 s17, s2
	s_cbranch_execz .LBB0_12
; %bb.11:
	ds_load_b64 v[65:66], v15 offset:7104
	ds_load_b64 v[69:70], v15 offset:11136
	;; [unrolled: 1-line block ×6, first 2 shown]
	ds_load_b64 v[63:64], v16
	ds_load_b64 v[75:76], v15 offset:31296
.LBB0_12:
	s_wait_alu 0xfffe
	s_or_b32 exec_lo, exec_lo, s17
	v_mul_lo_u16 v0, 0x87, v14
	v_and_b32_e32 v124, 0xffff, v119
	s_load_b64 s[0:1], s[0:1], 0x8
	v_mul_lo_u16 v13, 0x87, v13
	s_and_not1_b32 vcc_lo, exec_lo, s3
	v_lshrrev_b16 v0, 8, v0
	s_delay_alu instid0(VALU_DEP_2) | instskip(NEXT) | instid1(VALU_DEP_2)
	v_lshrrev_b16 v13, 8, v13
	v_sub_nc_u16 v14, v122, v0
	s_delay_alu instid0(VALU_DEP_1) | instskip(NEXT) | instid1(VALU_DEP_1)
	v_lshrrev_b16 v14, 1, v14
	v_and_b32_e32 v14, 0x7f, v14
	s_delay_alu instid0(VALU_DEP_1) | instskip(SKIP_1) | instid1(VALU_DEP_2)
	v_add_nc_u16 v0, v14, v0
	v_mul_u32_u24_e32 v14, 7, v124
	v_lshrrev_b16 v0, 4, v0
	s_delay_alu instid0(VALU_DEP_2) | instskip(SKIP_2) | instid1(VALU_DEP_1)
	v_lshlrev_b32_e32 v15, 3, v14
	global_load_b128 v[17:20], v15, s[14:15] offset:144
	v_and_b32_e32 v123, 15, v0
	v_mul_lo_u16 v0, v123, 21
	s_delay_alu instid0(VALU_DEP_1) | instskip(NEXT) | instid1(VALU_DEP_1)
	v_sub_nc_u16 v0, v122, v0
	v_and_b32_e32 v14, 0xff, v0
	s_delay_alu instid0(VALU_DEP_1) | instskip(NEXT) | instid1(VALU_DEP_1)
	v_mul_u32_u24_e32 v0, 7, v14
	v_lshlrev_b32_e32 v0, 3, v0
	s_wait_loadcnt_dscnt 0x8
	v_mul_f32_e32 v154, v18, v37
	s_clause 0x4
	global_load_b128 v[49:52], v0, s[14:15] offset:144
	global_load_b128 v[45:48], v15, s[14:15] offset:160
	;; [unrolled: 1-line block ×5, first 2 shown]
	s_wait_dscnt 0x7
	v_dual_mul_f32 v155, v20, v33 :: v_dual_fmac_f32 v154, v17, v38
	s_delay_alu instid0(VALU_DEP_1)
	v_fmac_f32_e32 v155, v19, v34
	v_add_nc_u32_e32 v129, 21, v124
	v_mul_lo_u32 v16, v61, v124
	v_add_nc_u32_e32 v125, 0x54, v124
	v_add_nc_u32_e32 v128, 0x7e, v124
	;; [unrolled: 1-line block ×3, first 2 shown]
	v_mul_lo_u32 v25, v61, v129
	v_add_nc_u32_e32 v130, 63, v124
	s_delay_alu instid0(VALU_DEP_3) | instskip(NEXT) | instid1(VALU_DEP_2)
	v_mul_lo_u32 v26, v61, v127
	v_mul_lo_u32 v28, v61, v130
	s_delay_alu instid0(VALU_DEP_4)
	v_and_b32_e32 v89, 0xff, v25
	v_lshrrev_b32_e32 v25, 5, v25
	s_wait_loadcnt 0x4
	v_mul_f32_e32 v158, v35, v52
	v_and_b32_e32 v27, 0xff, v16
	v_lshrrev_b32_e32 v16, 5, v16
	s_wait_loadcnt_dscnt 0x4
	v_dual_mul_f32 v156, v50, v39 :: v_dual_mul_f32 v173, v11, v58
	v_fmac_f32_e32 v158, v36, v51
	v_lshlrev_b32_e32 v27, 3, v27
	v_and_b32_e32 v16, 0x7f8, v16
	s_delay_alu instid0(VALU_DEP_4)
	v_dual_fmac_f32 v156, v49, v40 :: v_dual_fmac_f32 v173, v12, v57
	s_wait_kmcnt 0x0
	s_clause 0x1
	global_load_b64 v[85:86], v27, s[0:1]
	global_load_b64 v[87:88], v16, s[0:1] offset:2048
	v_mul_lo_u32 v84, v61, v125
	v_and_b32_e32 v16, 0xff, v26
	v_and_b32_e32 v27, 0xff, v28
	v_lshrrev_b32_e32 v26, 5, v26
	v_lshlrev_b32_e32 v89, 3, v89
	v_lshrrev_b32_e32 v28, 5, v28
	v_mul_f32_e32 v160, v46, v29
	v_and_b32_e32 v25, 0x7f8, v25
	v_and_b32_e32 v99, 0xff, v84
	v_lshlrev_b32_e32 v16, 3, v16
	v_lshlrev_b32_e32 v27, 3, v27
	v_and_b32_e32 v28, 0x7f8, v28
	v_fmac_f32_e32 v160, v45, v30
	s_clause 0x1
	global_load_b64 v[89:90], v89, s[0:1]
	global_load_b64 v[91:92], v25, s[0:1] offset:2048
	v_and_b32_e32 v25, 0x7f8, v26
	s_clause 0x3
	global_load_b64 v[93:94], v16, s[0:1]
	global_load_b64 v[95:96], v25, s[0:1] offset:2048
	global_load_b64 v[101:102], v27, s[0:1]
	global_load_b64 v[103:104], v28, s[0:1] offset:2048
	v_lshrrev_b32_e32 v26, 5, v84
	v_dual_mul_f32 v171, v54, v9 :: v_dual_lshlrev_b32 v28, 3, v99
	v_add_nc_u32_e32 v126, 0x69, v124
	v_mul_lo_u32 v98, v61, v128
	s_delay_alu instid0(VALU_DEP_4)
	v_and_b32_e32 v26, 0x7f8, v26
	s_clause 0x1
	global_load_b64 v[111:112], v28, s[0:1]
	global_load_b64 v[113:114], v26, s[0:1] offset:2048
	v_fmac_f32_e32 v171, v53, v10
	v_mul_lo_u32 v97, v61, v126
	v_and_b32_e32 v84, 0xff, v98
	v_lshrrev_b32_e32 v27, 5, v98
	v_dual_mul_f32 v162, v31, v42 :: v_dual_add_nc_u32 v131, 0x93, v124
	v_mul_f32_e32 v164, v23, v44
	s_delay_alu instid0(VALU_DEP_4) | instskip(NEXT) | instid1(VALU_DEP_4)
	v_lshlrev_b32_e32 v84, 3, v84
	v_and_b32_e32 v26, 0x7f8, v27
	v_and_b32_e32 v16, 0xff, v97
	v_lshrrev_b32_e32 v25, 5, v97
	v_fmac_f32_e32 v162, v32, v41
	v_fmac_f32_e32 v164, v24, v43
	s_wait_dscnt 0x3
	v_mul_f32_e32 v172, v56, v5
	v_lshlrev_b32_e32 v16, 3, v16
	v_and_b32_e32 v25, 0x7f8, v25
	s_clause 0x3
	global_load_b64 v[115:116], v16, s[0:1]
	global_load_b64 v[117:118], v25, s[0:1] offset:2048
	global_load_b64 v[107:108], v84, s[0:1]
	global_load_b64 v[109:110], v26, s[0:1] offset:2048
	global_load_b64 v[105:106], v15, s[14:15] offset:192
	v_mul_lo_u32 v16, v61, v131
	v_add_nc_u32_e32 v25, 42, v14
	v_fmac_f32_e32 v172, v55, v6
	v_mul_f32_e32 v176, v7, v60
	s_delay_alu instid0(VALU_DEP_3) | instskip(SKIP_2) | instid1(VALU_DEP_4)
	v_mul_lo_u32 v140, v61, v25
	v_and_b32_e32 v15, 0xff, v16
	v_lshrrev_b32_e32 v16, 5, v16
	v_fmac_f32_e32 v176, v8, v59
	s_delay_alu instid0(VALU_DEP_3) | instskip(NEXT) | instid1(VALU_DEP_3)
	v_lshlrev_b32_e32 v15, 3, v15
	v_and_b32_e32 v16, 0x7f8, v16
	s_clause 0x1
	global_load_b64 v[97:98], v15, s[0:1]
	global_load_b64 v[99:100], v16, s[0:1] offset:2048
	v_sub_nc_u16 v15, v83, v13
	s_delay_alu instid0(VALU_DEP_1) | instskip(NEXT) | instid1(VALU_DEP_1)
	v_lshrrev_b16 v15, 1, v15
	v_and_b32_e32 v15, 0x7f, v15
	s_delay_alu instid0(VALU_DEP_1) | instskip(NEXT) | instid1(VALU_DEP_1)
	v_add_nc_u16 v13, v15, v13
	v_lshrrev_b16 v13, 4, v13
	s_delay_alu instid0(VALU_DEP_1) | instskip(NEXT) | instid1(VALU_DEP_1)
	v_and_b32_e32 v13, 15, v13
	v_mul_lo_u16 v13, v13, 21
	s_delay_alu instid0(VALU_DEP_1) | instskip(SKIP_1) | instid1(VALU_DEP_2)
	v_sub_nc_u16 v13, v83, v13
	v_add_nc_u32_e32 v83, 0x7e, v14
	v_and_b32_e32 v13, 0xff, v13
	s_delay_alu instid0(VALU_DEP_2) | instskip(NEXT) | instid1(VALU_DEP_2)
	v_mul_lo_u32 v144, v61, v83
	v_mul_lo_u32 v132, v61, v13
	v_add_nc_u32_e32 v133, 21, v13
	v_add_nc_u32_e32 v135, 63, v13
	s_delay_alu instid0(VALU_DEP_2) | instskip(NEXT) | instid1(VALU_DEP_4)
	v_mul_lo_u32 v146, v61, v133
	v_and_b32_e32 v150, 0xff, v132
	v_lshrrev_b32_e32 v151, 5, v132
	global_load_b64 v[132:133], v0, s[14:15] offset:192
	v_mul_f32_e32 v0, v18, v38
	v_mul_f32_e32 v18, v20, v34
	v_lshlrev_b32_e32 v161, 3, v150
	s_delay_alu instid0(VALU_DEP_3) | instskip(NEXT) | instid1(VALU_DEP_3)
	v_fma_f32 v0, v17, v37, -v0
	v_fma_f32 v33, v19, v33, -v18
	v_dual_mul_f32 v37, v50, v40 :: v_dual_add_nc_u32 v26, 63, v14
	v_lshrrev_b32_e32 v40, 5, v140
	s_delay_alu instid0(VALU_DEP_2) | instskip(NEXT) | instid1(VALU_DEP_3)
	v_mul_lo_u32 v141, v61, v26
	v_fma_f32 v157, v49, v39, -v37
	v_and_b32_e32 v37, 0xff, v140
	v_mul_f32_e32 v39, v36, v52
	v_and_b32_e32 v140, 0xff, v144
	v_and_b32_e32 v49, 0xff, v141
	v_lshrrev_b32_e32 v52, 5, v141
	v_lshrrev_b32_e32 v141, 5, v144
	v_mul_f32_e32 v144, v46, v30
	v_mul_f32_e32 v46, v48, v22
	;; [unrolled: 1-line block ×3, first 2 shown]
	v_fma_f32 v159, v35, v51, -v39
	s_delay_alu instid0(VALU_DEP_4)
	v_fma_f32 v29, v45, v29, -v144
	v_mul_f32_e32 v45, v32, v42
	v_add_nc_u32_e32 v28, 0x69, v14
	v_mul_f32_e32 v32, v24, v44
	v_mul_lo_u32 v15, v61, v14
	v_fmac_f32_e32 v48, v47, v22
	v_fma_f32 v163, v31, v41, -v45
	v_mul_lo_u32 v143, v61, v28
	v_add_nc_u32_e32 v16, 21, v14
	v_add_nc_u32_e32 v27, 0x54, v14
	;; [unrolled: 1-line block ×3, first 2 shown]
	v_fma_f32 v30, v47, v21, -v46
	v_lshrrev_b32_e32 v149, 5, v15
	v_mul_lo_u32 v139, v61, v16
	v_mul_lo_u32 v142, v61, v27
	v_and_b32_e32 v39, 0xff, v143
	v_lshrrev_b32_e32 v51, 5, v143
	v_and_b32_e32 v38, 0x7f8, v149
	v_mul_lo_u32 v145, v61, v14
	v_fma_f32 v165, v23, v43, -v32
	v_lshrrev_b32_e32 v22, 5, v146
	v_and_b32_e32 v144, 0x7f8, v51
	v_and_b32_e32 v35, 0xff, v142
	v_lshrrev_b32_e32 v36, 5, v142
	s_delay_alu instid0(VALU_DEP_4) | instskip(SKIP_2) | instid1(VALU_DEP_4)
	v_and_b32_e32 v22, 0x7f8, v22
	v_and_b32_e32 v142, 0xff, v145
	v_lshrrev_b32_e32 v143, 5, v145
	v_and_b32_e32 v36, 0x7f8, v36
	s_delay_alu instid0(VALU_DEP_3) | instskip(NEXT) | instid1(VALU_DEP_3)
	v_lshlrev_b32_e32 v150, 3, v142
	v_and_b32_e32 v152, 0x7f8, v143
	s_wait_loadcnt 0x10
	v_mul_f32_e32 v178, v85, v88
	v_mul_lo_u32 v135, v61, v135
	s_delay_alu instid0(VALU_DEP_2) | instskip(SKIP_1) | instid1(VALU_DEP_3)
	v_fmac_f32_e32 v178, v86, v87
	v_and_b32_e32 v40, 0x7f8, v40
	v_lshrrev_b32_e32 v41, 5, v135
	v_and_b32_e32 v31, 0xff, v135
	s_delay_alu instid0(VALU_DEP_2) | instskip(SKIP_4) | instid1(VALU_DEP_4)
	v_and_b32_e32 v167, 0x7f8, v41
	v_mul_f32_e32 v41, v56, v6
	v_dual_mul_f32 v6, v12, v58 :: v_dual_add_nc_u32 v137, 0x69, v13
	v_add_nc_u32_e32 v138, 0x7e, v13
	v_add_nc_u32_e32 v136, 0x54, v13
	v_fma_f32 v5, v55, v5, -v41
	v_mul_u32_u24_e32 v84, 7, v13
	v_mul_lo_u32 v137, v61, v137
	v_fma_f32 v175, v11, v57, -v6
	s_delay_alu instid0(VALU_DEP_4)
	v_dual_mul_f32 v6, v86, v88 :: v_dual_sub_f32 v5, v33, v5
	v_and_b32_e32 v148, 0xff, v15
	v_mul_lo_u32 v138, v61, v138
	v_mul_lo_u32 v136, v61, v136
	v_add_nc_u32_e32 v134, 42, v13
	v_lshrrev_b32_e32 v24, 5, v137
	v_add_nc_u32_e32 v13, 0x93, v13
	v_fma_f32 v179, v85, v87, -v6
	s_wait_loadcnt 0xe
	v_mul_f32_e32 v6, v90, v92
	v_mul_f32_e32 v92, v89, v92
	v_and_b32_e32 v170, 0x7f8, v24
	v_dual_mul_f32 v24, v54, v10 :: v_dual_lshlrev_b32 v25, 3, v84
	s_wait_loadcnt 0xa
	v_mul_f32_e32 v86, v101, v104
	v_fmac_f32_e32 v92, v90, v91
	v_mul_lo_u32 v134, v61, v134
	v_fma_f32 v24, v53, v9, -v24
	v_mul_f32_e32 v9, v8, v60
	v_dual_mul_f32 v8, v102, v104 :: v_dual_lshlrev_b32 v39, 3, v39
	v_mul_lo_u32 v147, v61, v13
	s_delay_alu instid0(VALU_DEP_4)
	v_sub_f32_e32 v24, v0, v24
	v_lshlrev_b32_e32 v34, 3, v148
	s_clause 0x3
	global_load_b64 v[83:84], v25, s[14:15] offset:192
	global_load_b128 v[13:16], v25, s[14:15] offset:176
	global_load_b128 v[17:20], v25, s[14:15] offset:160
	global_load_b128 v[25:28], v25, s[14:15] offset:144
	v_and_b32_e32 v23, 0xff, v137
	v_fma_f32 v0, v0, 2.0, -v24
	v_and_b32_e32 v50, 0xff, v139
	v_lshrrev_b32_e32 v139, 5, v139
	v_and_b32_e32 v32, 0xff, v138
	v_lshrrev_b32_e32 v43, 5, v138
	v_lshlrev_b32_e32 v137, 3, v49
	v_and_b32_e32 v138, 0x7f8, v52
	v_fma_f32 v177, v7, v59, -v9
	v_mul_f32_e32 v7, v94, v96
	v_fma_f32 v180, v89, v91, -v6
	v_mul_f32_e32 v6, v93, v96
	s_wait_loadcnt 0xc
	v_mul_f32_e32 v96, v111, v114
	v_lshlrev_b32_e32 v135, 3, v50
	s_clause 0x1
	global_load_b64 v[49:50], v34, s[0:1]
	global_load_b64 v[51:52], v38, s[0:1] offset:2048
	v_dual_fmac_f32 v86, v102, v103 :: v_dual_and_b32 v21, 0xff, v146
	v_and_b32_e32 v44, 0xff, v136
	v_lshrrev_b32_e32 v45, 5, v136
	v_and_b32_e32 v136, 0x7f8, v139
	v_fmac_f32_e32 v96, v112, v113
	s_clause 0x1
	global_load_b64 v[53:54], v135, s[0:1]
	global_load_b64 v[55:56], v136, s[0:1] offset:2048
	v_and_b32_e32 v46, 0xff, v134
	v_lshrrev_b32_e32 v47, 5, v134
	v_and_b32_e32 v134, 0xff, v147
	v_dual_fmac_f32 v6, v94, v95 :: v_dual_lshlrev_b32 v37, 3, v37
	v_lshlrev_b32_e32 v35, 3, v35
	v_lshrrev_b32_e32 v146, 5, v147
	s_delay_alu instid0(VALU_DEP_4)
	v_lshlrev_b32_e32 v174, 3, v134
	s_clause 0x3
	global_load_b64 v[57:58], v37, s[0:1]
	global_load_b64 v[134:135], v40, s[0:1] offset:2048
	global_load_b64 v[136:137], v137, s[0:1]
	global_load_b64 v[138:139], v138, s[0:1] offset:2048
	v_lshlrev_b32_e32 v147, 3, v140
	v_and_b32_e32 v148, 0x7f8, v141
	s_clause 0x3
	global_load_b64 v[87:88], v35, s[0:1]
	global_load_b64 v[140:141], v36, s[0:1] offset:2048
	global_load_b64 v[142:143], v39, s[0:1]
	global_load_b64 v[144:145], v144, s[0:1] offset:2048
	s_wait_loadcnt_dscnt 0x1302
	v_mul_f32_e32 v36, v106, v2
	v_mul_f32_e32 v37, v106, v1
	v_fma_f32 v91, v93, v95, -v7
	v_mul_f32_e32 v7, v112, v114
	v_fma_f32 v95, v101, v103, -v8
	v_fma_f32 v1, v105, v1, -v36
	v_sub_f32_e32 v36, v154, v171
	v_mul_f32_e32 v8, v116, v118
	v_mul_f32_e32 v9, v108, v110
	v_fmac_f32_e32 v37, v105, v2
	v_dual_sub_f32 v1, v29, v1 :: v_dual_and_b32 v42, 0x7f8, v151
	v_fma_f32 v60, v154, 2.0, -v36
	v_and_b32_e32 v47, 0x7f8, v47
	s_wait_loadcnt 0x11
	v_dual_mul_f32 v38, v98, v100 :: v_dual_lshlrev_b32 v21, 3, v21
	v_fma_f32 v29, v29, 2.0, -v1
	v_dual_add_f32 v1, v36, v1 :: v_dual_lshlrev_b32 v166, 3, v46
	v_lshlrev_b32_e32 v31, 3, v31
	v_lshlrev_b32_e32 v168, 3, v44
	v_and_b32_e32 v169, 0x7f8, v45
	v_and_b32_e32 v34, 0x7f8, v43
	;; [unrolled: 1-line block ×3, first 2 shown]
	s_clause 0x3
	global_load_b64 v[146:147], v147, s[0:1]
	global_load_b64 v[148:149], v148, s[0:1] offset:2048
	global_load_b64 v[150:151], v150, s[0:1]
	global_load_b64 v[152:153], v152, s[0:1] offset:2048
	v_fma_f32 v102, v111, v113, -v7
	v_fma_f32 v103, v115, v117, -v8
	s_clause 0x3
	global_load_b64 v[43:44], v161, s[0:1]
	global_load_b64 v[45:46], v42, s[0:1] offset:2048
	global_load_b64 v[39:40], v21, s[0:1]
	global_load_b64 v[41:42], v22, s[0:1] offset:2048
	v_fma_f32 v89, v107, v109, -v9
	s_clause 0x3
	global_load_b64 v[11:12], v166, s[0:1]
	global_load_b64 v[21:22], v47, s[0:1] offset:2048
	global_load_b64 v[7:8], v31, s[0:1]
	global_load_b64 v[9:10], v167, s[0:1] offset:2048
	s_wait_dscnt 0x1
	v_dual_sub_f32 v2, v81, v30 :: v_dual_sub_f32 v31, v82, v48
	v_dual_sub_f32 v30, v155, v172 :: v_dual_sub_f32 v37, v160, v37
	v_mul_f32_e32 v47, v97, v100
	s_delay_alu instid0(VALU_DEP_3) | instskip(NEXT) | instid1(VALU_DEP_4)
	v_fma_f32 v48, v81, 2.0, -v2
	v_fma_f32 v81, v82, 2.0, -v31
	;; [unrolled: 1-line block ×5, first 2 shown]
	v_add_f32_e32 v5, v31, v5
	v_sub_f32_e32 v37, v24, v37
	v_sub_f32_e32 v93, v2, v30
	v_mul_f32_e32 v35, v107, v110
	v_fma_f32 v94, v97, v99, -v38
	v_fmac_f32_e32 v47, v98, v99
	v_dual_sub_f32 v90, v81, v59 :: v_dual_sub_f32 v29, v0, v29
	v_sub_f32_e32 v33, v48, v33
	v_sub_f32_e32 v30, v60, v82
	v_fmamk_f32 v82, v1, 0x3f3504f3, v5
	v_fmamk_f32 v99, v37, 0x3f3504f3, v93
	v_dual_add_f32 v98, v90, v29 :: v_dual_lshlrev_b32 v23, 3, v23
	s_delay_alu instid0(VALU_DEP_4) | instskip(NEXT) | instid1(VALU_DEP_4)
	v_dual_fmac_f32 v35, v108, v109 :: v_dual_sub_f32 v104, v33, v30
	v_fmac_f32_e32 v82, 0x3f3504f3, v37
	s_delay_alu instid0(VALU_DEP_4)
	v_fmac_f32_e32 v99, 0xbf3504f3, v1
	v_fma_f32 v97, v24, 2.0, -v37
	v_fma_f32 v100, v36, 2.0, -v1
	;; [unrolled: 1-line block ×3, first 2 shown]
	v_mul_f32_e32 v60, v104, v35
	v_fma_f32 v108, v48, 2.0, -v33
	v_fma_f32 v109, v90, 2.0, -v98
	v_mul_f32_e32 v1, v82, v47
	v_mul_f32_e32 v48, v99, v47
	v_fma_f32 v2, v2, 2.0, -v93
	v_lshlrev_b32_e32 v32, 3, v32
	v_mul_f32_e32 v24, v98, v35
	v_fma_f32 v106, v0, 2.0, -v29
	v_fma_f32 v107, v31, 2.0, -v5
	;; [unrolled: 1-line block ×3, first 2 shown]
	v_dual_fmac_f32 v60, v98, v89 :: v_dual_mul_f32 v31, v109, v6
	v_fma_f32 v98, v5, 2.0, -v82
	v_fma_f32 v47, v99, v94, -v1
	v_fmac_f32_e32 v48, v82, v94
	v_fma_f32 v82, v93, 2.0, -v99
	v_fmamk_f32 v99, v97, 0xbf3504f3, v2
	v_fma_f32 v59, v104, v89, -v24
	s_clause 0x3
	global_load_b64 v[35:36], v168, s[0:1]
	global_load_b64 v[37:38], v169, s[0:1] offset:2048
	global_load_b64 v[23:24], v23, s[0:1]
	global_load_b64 v[29:30], v170, s[0:1] offset:2048
	v_fma_f32 v81, v81, 2.0, -v90
	v_mul_f32_e32 v90, v0, v6
	v_fma_f32 v89, v0, v91, -v31
	v_fmac_f32_e32 v99, 0xbf3504f3, v100
	s_clause 0x3
	global_load_b64 v[31:32], v32, s[0:1]
	global_load_b64 v[33:34], v34, s[0:1] offset:2048
	global_load_b64 v[0:1], v174, s[0:1]
	global_load_b64 v[5:6], v85, s[0:1] offset:2048
	v_dual_mul_f32 v101, v115, v118 :: v_dual_fmamk_f32 v100, v100, 0xbf3504f3, v107
	v_dual_sub_f32 v104, v81, v105 :: v_dual_mul_f32 v85, v98, v86
	s_delay_alu instid0(VALU_DEP_2) | instskip(NEXT) | instid1(VALU_DEP_3)
	v_dual_fmac_f32 v90, v109, v91 :: v_dual_fmac_f32 v101, v116, v117
	v_dual_fmac_f32 v100, 0x3f3504f3, v97 :: v_dual_sub_f32 v97, v108, v106
	s_delay_alu instid0(VALU_DEP_3) | instskip(NEXT) | instid1(VALU_DEP_4)
	v_dual_mul_f32 v94, v82, v86 :: v_dual_mul_f32 v91, v104, v96
	v_fma_f32 v93, v82, v95, -v85
	v_fma_f32 v106, v81, 2.0, -v104
	s_delay_alu instid0(VALU_DEP_4)
	v_mul_f32_e32 v86, v97, v96
	v_mul_f32_e32 v96, v100, v101
	v_mul_f32_e32 v82, v99, v101
	v_fma_f32 v2, v2, 2.0, -v99
	v_fma_f32 v85, v97, v102, -v91
	s_wait_loadcnt 0x24
	v_mul_f32_e32 v91, v4, v133
	v_mul_f32_e32 v101, v3, v133
	v_fma_f32 v81, v99, v103, -v96
	v_fma_f32 v99, v107, 2.0, -v100
	v_fma_f32 v105, v108, 2.0, -v97
	v_fma_f32 v3, v3, v132, -v91
	v_dual_fmac_f32 v101, v4, v132 :: v_dual_fmac_f32 v94, v98, v95
	s_delay_alu instid0(VALU_DEP_4) | instskip(NEXT) | instid1(VALU_DEP_3)
	v_mul_f32_e32 v4, v99, v92
	v_dual_mul_f32 v98, v2, v92 :: v_dual_sub_f32 v3, v163, v3
	v_dual_mul_f32 v95, v106, v178 :: v_dual_sub_f32 v92, v157, v175
	s_delay_alu instid0(VALU_DEP_3) | instskip(NEXT) | instid1(VALU_DEP_3)
	v_fma_f32 v97, v2, v180, -v4
	v_fmac_f32_e32 v98, v99, v180
	s_wait_dscnt 0x0
	v_sub_f32_e32 v4, v79, v165
	v_sub_f32_e32 v99, v156, v173
	v_fma_f32 v108, v163, 2.0, -v3
	v_fma_f32 v95, v105, v179, -v95
	s_delay_alu instid0(VALU_DEP_3) | instskip(SKIP_1) | instid1(VALU_DEP_2)
	v_add_f32_e32 v3, v99, v3
	v_fma_f32 v107, v156, 2.0, -v99
	v_fma_f32 v99, v99, 2.0, -v3
	s_wait_loadcnt 0x1e
	v_mul_f32_e32 v91, v50, v52
	v_mul_f32_e32 v52, v49, v52
	s_delay_alu instid0(VALU_DEP_2) | instskip(NEXT) | instid1(VALU_DEP_2)
	v_fma_f32 v2, v49, v51, -v91
	v_dual_fmac_f32 v52, v50, v51 :: v_dual_sub_f32 v49, v80, v164
	s_wait_loadcnt 0x1c
	v_dual_sub_f32 v50, v159, v177 :: v_dual_mul_f32 v91, v54, v56
	v_mul_f32_e32 v56, v53, v56
	v_sub_f32_e32 v51, v158, v176
	s_delay_alu instid0(VALU_DEP_3) | instskip(NEXT) | instid1(VALU_DEP_3)
	v_fma_f32 v53, v53, v55, -v91
	v_fmac_f32_e32 v56, v54, v55
	v_sub_f32_e32 v91, v162, v101
	s_wait_loadcnt 0x1a
	v_mul_f32_e32 v55, v57, v135
	v_mul_f32_e32 v54, v58, v135
	s_wait_loadcnt 0x18
	v_mul_f32_e32 v101, v136, v139
	v_fma_f32 v109, v162, 2.0, -v91
	v_fmac_f32_e32 v55, v58, v134
	v_fma_f32 v58, v79, 2.0, -v4
	v_fma_f32 v79, v80, 2.0, -v49
	;; [unrolled: 1-line block ×3, first 2 shown]
	v_add_f32_e32 v50, v49, v50
	v_mul_f32_e32 v96, v105, v178
	v_fma_f32 v54, v57, v134, -v54
	s_wait_loadcnt 0x16
	v_mul_f32_e32 v57, v88, v141
	v_fma_f32 v105, v158, 2.0, -v51
	v_fma_f32 v49, v49, 2.0, -v50
	v_fmac_f32_e32 v96, v106, v179
	v_fma_f32 v106, v157, 2.0, -v92
	v_fma_f32 v110, v87, v140, -v57
	v_sub_f32_e32 v57, v58, v80
	v_dual_fmamk_f32 v111, v99, 0xbf3504f3, v49 :: v_dual_fmac_f32 v86, v104, v102
	v_dual_mul_f32 v102, v87, v141 :: v_dual_sub_f32 v51, v4, v51
	v_dual_sub_f32 v91, v92, v91 :: v_dual_sub_f32 v80, v79, v105
	v_sub_f32_e32 v87, v106, v108
	s_delay_alu instid0(VALU_DEP_3)
	v_fmac_f32_e32 v102, v88, v140
	v_sub_f32_e32 v88, v107, v109
	v_fma_f32 v4, v4, 2.0, -v51
	v_fma_f32 v92, v92, 2.0, -v91
	v_fmamk_f32 v105, v91, 0x3f3504f3, v51
	v_fmamk_f32 v108, v3, 0x3f3504f3, v50
	v_fma_f32 v58, v58, 2.0, -v57
	v_fma_f32 v79, v79, 2.0, -v80
	;; [unrolled: 1-line block ×4, first 2 shown]
	v_dual_fmamk_f32 v109, v92, 0xbf3504f3, v4 :: v_dual_sub_f32 v112, v57, v88
	v_add_f32_e32 v113, v80, v87
	v_fmac_f32_e32 v82, v100, v103
	v_fmac_f32_e32 v105, 0xbf3504f3, v3
	v_dual_sub_f32 v3, v58, v106 :: v_dual_fmac_f32 v108, 0x3f3504f3, v91
	v_sub_f32_e32 v106, v79, v107
	v_mul_f32_e32 v100, v137, v139
	s_wait_loadcnt 0x14
	v_dual_mul_f32 v104, v142, v145 :: v_dual_fmac_f32 v101, v137, v138
	v_fmac_f32_e32 v109, 0xbf3504f3, v99
	v_fmac_f32_e32 v111, 0x3f3504f3, v92
	v_fma_f32 v57, v57, 2.0, -v112
	v_fma_f32 v87, v80, 2.0, -v113
	;; [unrolled: 1-line block ×6, first 2 shown]
	v_mul_f32_e32 v103, v143, v145
	v_fma_f32 v100, v136, v138, -v100
	v_fmac_f32_e32 v104, v143, v144
	v_fma_f32 v4, v4, 2.0, -v109
	v_fma_f32 v49, v49, 2.0, -v111
	v_mul_f32_e32 v79, v87, v55
	v_dual_mul_f32 v80, v57, v55 :: v_dual_mul_f32 v55, v50, v101
	v_dual_mul_f32 v58, v51, v101 :: v_dual_mul_f32 v101, v106, v102
	v_mul_f32_e32 v107, v99, v52
	v_mul_f32_e32 v92, v91, v52
	;; [unrolled: 1-line block ×3, first 2 shown]
	v_fma_f32 v79, v57, v54, -v79
	v_mul_f32_e32 v88, v4, v56
	v_fma_f32 v57, v51, v100, -v55
	v_fma_f32 v91, v91, v2, -v107
	v_fmac_f32_e32 v92, v99, v2
	v_mul_f32_e32 v56, v3, v102
	v_fma_f32 v55, v3, v110, -v101
	v_fma_f32 v2, v142, v144, -v103
	v_mul_f32_e32 v3, v111, v104
	v_fmac_f32_e32 v80, v87, v54
	v_fma_f32 v87, v4, v53, -v52
	v_fmac_f32_e32 v88, v49, v53
	v_mul_f32_e32 v54, v109, v104
	s_wait_loadcnt 0x12
	v_mul_f32_e32 v4, v146, v149
	v_mul_f32_e32 v49, v147, v149
	v_fma_f32 v53, v109, v2, -v3
	s_wait_loadcnt 0x10
	v_dual_mul_f32 v3, v150, v153 :: v_dual_fmac_f32 v54, v111, v2
	v_fmac_f32_e32 v4, v147, v148
	v_fma_f32 v2, v146, v148, -v49
	v_mul_f32_e32 v49, v151, v153
	s_delay_alu instid0(VALU_DEP_4)
	v_fmac_f32_e32 v3, v151, v152
	v_fmac_f32_e32 v58, v50, v100
	v_mul_f32_e32 v51, v113, v4
	v_mul_f32_e32 v50, v112, v4
	v_fma_f32 v4, v150, v152, -v49
	v_mul_f32_e32 v99, v108, v3
	v_mul_f32_e32 v52, v105, v3
	v_fmac_f32_e32 v56, v106, v110
	v_fma_f32 v49, v112, v2, -v51
	v_fmac_f32_e32 v50, v113, v2
	v_fma_f32 v51, v105, v4, -v99
	v_fmac_f32_e32 v52, v108, v4
	s_wait_alu 0xfffe
	s_cbranch_vccnz .LBB0_14
; %bb.13:
	v_mad_co_u64_u32 v[99:100], null, s8, v124, 0
	v_mad_co_u64_u32 v[2:3], null, s4, v121, 0
	;; [unrolled: 1-line block ×3, first 2 shown]
	s_lshl_b64 s[0:1], s[6:7], 3
	v_mad_co_u64_u32 v[110:111], null, s8, v125, 0
	s_delay_alu instid0(VALU_DEP_4) | instskip(SKIP_2) | instid1(VALU_DEP_1)
	v_mov_b32_e32 v4, v100
	s_add_nc_u64 s[0:1], s[12:13], s[0:1]
	s_and_b32 s16, s2, exec_lo
	v_mad_co_u64_u32 v[103:104], null, s5, v121, v[3:4]
	s_delay_alu instid0(VALU_DEP_4) | instskip(SKIP_3) | instid1(VALU_DEP_3)
	v_mov_b32_e32 v3, v102
	v_mad_co_u64_u32 v[104:105], null, s8, v127, 0
	s_wait_loadcnt 0x0
	v_mad_co_u64_u32 v[106:107], null, s9, v124, v[4:5]
	v_mad_co_u64_u32 v[107:108], null, s9, v129, v[3:4]
	;; [unrolled: 1-line block ×3, first 2 shown]
	s_delay_alu instid0(VALU_DEP_4) | instskip(NEXT) | instid1(VALU_DEP_4)
	v_dual_mov_b32 v3, v103 :: v_dual_mov_b32 v4, v105
	v_mov_b32_e32 v100, v106
	s_delay_alu instid0(VALU_DEP_4) | instskip(NEXT) | instid1(VALU_DEP_3)
	v_mov_b32_e32 v102, v107
	v_lshlrev_b64_e32 v[2:3], 3, v[2:3]
	s_delay_alu instid0(VALU_DEP_4) | instskip(SKIP_1) | instid1(VALU_DEP_4)
	v_mad_co_u64_u32 v[105:106], null, s9, v127, v[4:5]
	v_mov_b32_e32 v4, v109
	v_lshlrev_b64_e32 v[101:102], 3, v[101:102]
	s_delay_alu instid0(VALU_DEP_4) | instskip(NEXT) | instid1(VALU_DEP_3)
	v_add_co_u32 v2, vcc_lo, s0, v2
	v_mad_co_u64_u32 v[106:107], null, s9, v130, v[4:5]
	s_wait_alu 0xfffd
	v_add_co_ci_u32_e32 v3, vcc_lo, s1, v3, vcc_lo
	v_mov_b32_e32 v4, v111
	s_delay_alu instid0(VALU_DEP_3) | instskip(SKIP_1) | instid1(VALU_DEP_1)
	v_mov_b32_e32 v109, v106
	v_lshlrev_b64_e32 v[99:100], 3, v[99:100]
	v_add_co_u32 v99, vcc_lo, v2, v99
	s_wait_alu 0xfffd
	s_delay_alu instid0(VALU_DEP_2)
	v_add_co_ci_u32_e32 v100, vcc_lo, v3, v100, vcc_lo
	v_add_co_u32 v101, vcc_lo, v2, v101
	s_wait_alu 0xfffd
	v_add_co_ci_u32_e32 v102, vcc_lo, v3, v102, vcc_lo
	s_clause 0x1
	global_store_b64 v[99:100], v[95:96], off
	global_store_b64 v[101:102], v[97:98], off
	v_mad_co_u64_u32 v[101:102], null, s8, v126, 0
	v_lshlrev_b64_e32 v[99:100], 3, v[104:105]
	v_mad_co_u64_u32 v[105:106], null, s9, v125, v[4:5]
	v_mad_co_u64_u32 v[106:107], null, s8, v128, 0
	v_lshlrev_b64_e32 v[103:104], 3, v[108:109]
	v_mov_b32_e32 v4, v102
	v_add_co_u32 v99, vcc_lo, v2, v99
	s_wait_alu 0xfffd
	v_add_co_ci_u32_e32 v100, vcc_lo, v3, v100, vcc_lo
	s_delay_alu instid0(VALU_DEP_4)
	v_add_co_u32 v102, vcc_lo, v2, v103
	v_mad_co_u64_u32 v[108:109], null, s9, v126, v[4:5]
	v_mov_b32_e32 v4, v107
	s_wait_alu 0xfffd
	v_add_co_ci_u32_e32 v103, vcc_lo, v3, v104, vcc_lo
	v_mov_b32_e32 v111, v105
	s_clause 0x1
	global_store_b64 v[99:100], v[89:90], off
	global_store_b64 v[102:103], v[93:94], off
	v_mad_co_u64_u32 v[103:104], null, s9, v128, v[4:5]
	v_and_b32_e32 v4, 0xffff, v123
	v_lshlrev_b64_e32 v[99:100], 3, v[110:111]
	v_mad_co_u64_u32 v[104:105], null, s8, v131, 0
	s_delay_alu instid0(VALU_DEP_3) | instskip(SKIP_1) | instid1(VALU_DEP_4)
	v_mad_u32_u24 v112, 0x93, v4, v122
	v_mov_b32_e32 v102, v108
	v_add_co_u32 v99, vcc_lo, v2, v99
	s_wait_alu 0xfffd
	v_add_co_ci_u32_e32 v100, vcc_lo, v3, v100, vcc_lo
	v_add_nc_u32_e32 v113, 63, v112
	v_lshlrev_b64_e32 v[101:102], 3, v[101:102]
	v_dual_mov_b32 v107, v103 :: v_dual_mov_b32 v4, v105
	global_store_b64 v[99:100], v[85:86], off
	v_add_nc_u32_e32 v110, 42, v112
	v_add_co_u32 v99, vcc_lo, v2, v101
	s_wait_alu 0xfffd
	v_add_co_ci_u32_e32 v100, vcc_lo, v3, v102, vcc_lo
	v_lshlrev_b64_e32 v[101:102], 3, v[106:107]
	v_mad_co_u64_u32 v[106:107], null, s8, v112, 0
	v_mad_co_u64_u32 v[108:109], null, s9, v131, v[4:5]
	global_store_b64 v[99:100], v[81:82], off
	v_add_co_u32 v101, vcc_lo, v2, v101
	s_wait_alu 0xfffd
	v_add_co_ci_u32_e32 v102, vcc_lo, v3, v102, vcc_lo
	v_dual_mov_b32 v4, v107 :: v_dual_mov_b32 v105, v108
	v_add_nc_u32_e32 v108, 21, v112
	global_store_b64 v[101:102], v[59:60], off
	v_mad_co_u64_u32 v[99:100], null, s9, v112, v[4:5]
	v_mad_co_u64_u32 v[102:103], null, s8, v108, 0
	v_lshlrev_b64_e32 v[100:101], 3, v[104:105]
	v_mad_co_u64_u32 v[104:105], null, s8, v110, 0
	s_delay_alu instid0(VALU_DEP_4) | instskip(NEXT) | instid1(VALU_DEP_3)
	v_mov_b32_e32 v107, v99
	v_add_co_u32 v99, vcc_lo, v2, v100
	v_mov_b32_e32 v4, v103
	s_wait_alu 0xfffd
	v_add_co_ci_u32_e32 v100, vcc_lo, v3, v101, vcc_lo
	v_mov_b32_e32 v101, v105
	v_lshlrev_b64_e32 v[106:107], 3, v[106:107]
	v_mad_co_u64_u32 v[108:109], null, s9, v108, v[4:5]
	global_store_b64 v[99:100], v[47:48], off
	v_mad_co_u64_u32 v[109:110], null, s9, v110, v[101:102]
	v_mad_co_u64_u32 v[110:111], null, s8, v113, 0
	v_add_co_u32 v105, vcc_lo, v2, v106
	s_wait_alu 0xfffd
	v_add_co_ci_u32_e32 v106, vcc_lo, v3, v107, vcc_lo
	s_delay_alu instid0(VALU_DEP_3)
	v_dual_mov_b32 v103, v108 :: v_dual_mov_b32 v4, v111
	global_store_b64 v[105:106], v[91:92], off
	v_mov_b32_e32 v105, v109
	v_lshlrev_b64_e32 v[99:100], 3, v[102:103]
	v_add_nc_u32_e32 v106, 0x54, v112
	v_mad_co_u64_u32 v[101:102], null, s9, v113, v[4:5]
	s_delay_alu instid0(VALU_DEP_4) | instskip(NEXT) | instid1(VALU_DEP_4)
	v_lshlrev_b64_e32 v[102:103], 3, v[104:105]
	v_add_co_u32 v99, vcc_lo, v2, v99
	s_delay_alu instid0(VALU_DEP_4)
	v_mad_co_u64_u32 v[104:105], null, s8, v106, 0
	s_wait_alu 0xfffd
	v_add_co_ci_u32_e32 v100, vcc_lo, v3, v100, vcc_lo
	v_mov_b32_e32 v111, v101
	v_add_co_u32 v101, vcc_lo, v2, v102
	s_wait_alu 0xfffd
	v_add_co_ci_u32_e32 v102, vcc_lo, v3, v103, vcc_lo
	v_dual_mov_b32 v4, v105 :: v_dual_add_nc_u32 v103, 0x69, v112
	global_store_b64 v[99:100], v[87:88], off
	v_lshlrev_b64_e32 v[99:100], 3, v[110:111]
	v_add_nc_u32_e32 v111, 0x93, v112
	global_store_b64 v[101:102], v[79:80], off
	v_mad_co_u64_u32 v[101:102], null, s8, v103, 0
	v_add_nc_u32_e32 v110, 0x7e, v112
	v_mad_co_u64_u32 v[105:106], null, s9, v106, v[4:5]
	v_add_co_u32 v99, vcc_lo, v2, v99
	s_delay_alu instid0(VALU_DEP_3) | instskip(SKIP_4) | instid1(VALU_DEP_3)
	v_mad_co_u64_u32 v[106:107], null, s8, v110, 0
	v_mov_b32_e32 v4, v102
	s_wait_alu 0xfffd
	v_add_co_ci_u32_e32 v100, vcc_lo, v3, v100, vcc_lo
	v_mad_co_u64_u32 v[108:109], null, s8, v111, 0
	v_mad_co_u64_u32 v[102:103], null, s9, v103, v[4:5]
	v_mov_b32_e32 v4, v107
	global_store_b64 v[99:100], v[57:58], off
	v_lshlrev_b64_e32 v[99:100], 3, v[104:105]
	v_mov_b32_e32 v103, v109
	v_mad_co_u64_u32 v[104:105], null, s9, v110, v[4:5]
	v_lshlrev_b64_e32 v[101:102], 3, v[101:102]
	s_delay_alu instid0(VALU_DEP_4) | instskip(SKIP_2) | instid1(VALU_DEP_4)
	v_add_co_u32 v99, vcc_lo, v2, v99
	s_wait_alu 0xfffd
	v_add_co_ci_u32_e32 v100, vcc_lo, v3, v100, vcc_lo
	v_mad_co_u64_u32 v[109:110], null, s9, v111, v[103:104]
	v_mov_b32_e32 v107, v104
	v_add_co_u32 v101, vcc_lo, v2, v101
	s_wait_alu 0xfffd
	v_add_co_ci_u32_e32 v102, vcc_lo, v3, v102, vcc_lo
	global_store_b64 v[99:100], v[55:56], off
	v_lshlrev_b64_e32 v[99:100], 3, v[106:107]
	global_store_b64 v[101:102], v[53:54], off
	v_lshlrev_b64_e32 v[101:102], 3, v[108:109]
	v_add_co_u32 v99, vcc_lo, v2, v99
	s_wait_alu 0xfffd
	v_add_co_ci_u32_e32 v100, vcc_lo, v3, v100, vcc_lo
	s_delay_alu instid0(VALU_DEP_3)
	v_add_co_u32 v101, vcc_lo, v2, v101
	s_wait_alu 0xfffd
	v_add_co_ci_u32_e32 v102, vcc_lo, v3, v102, vcc_lo
	s_clause 0x1
	global_store_b64 v[99:100], v[49:50], off
	global_store_b64 v[101:102], v[51:52], off
	s_cbranch_execz .LBB0_15
	s_branch .LBB0_18
.LBB0_14:
                                        ; implicit-def: $vgpr2_vgpr3
.LBB0_15:
	s_mov_b32 s0, exec_lo
                                        ; implicit-def: $vgpr2_vgpr3
	v_cmpx_gt_u64_e64 s[10:11], v[61:62]
	s_cbranch_execz .LBB0_17
; %bb.16:
	v_mad_co_u64_u32 v[61:62], null, s8, v124, 0
	v_mad_co_u64_u32 v[2:3], null, s4, v121, 0
	v_mad_co_u64_u32 v[99:100], null, s8, v129, 0
	s_wait_alu 0xfffe
	s_and_not1_b32 s1, s16, exec_lo
	s_and_b32 s2, s2, exec_lo
	s_delay_alu instid0(VALU_DEP_3) | instskip(SKIP_2) | instid1(VALU_DEP_1)
	v_mov_b32_e32 v4, v62
	s_wait_alu 0xfffe
	s_or_b32 s16, s1, s2
	v_mad_co_u64_u32 v[101:102], null, s5, v121, v[3:4]
	v_mov_b32_e32 v3, v100
	s_wait_loadcnt 0x0
	v_mad_co_u64_u32 v[102:103], null, s9, v124, v[4:5]
	v_mad_co_u64_u32 v[103:104], null, s8, v127, 0
	s_delay_alu instid0(VALU_DEP_3) | instskip(SKIP_4) | instid1(VALU_DEP_3)
	v_mad_co_u64_u32 v[105:106], null, s9, v129, v[3:4]
	v_mov_b32_e32 v3, v101
	v_mad_co_u64_u32 v[106:107], null, s8, v130, 0
	v_mov_b32_e32 v62, v102
	s_lshl_b64 s[4:5], s[6:7], 3
	v_lshlrev_b64_e32 v[2:3], 3, v[2:3]
	v_mov_b32_e32 v100, v105
	s_wait_alu 0xfffe
	s_add_nc_u64 s[4:5], s[12:13], s[4:5]
	v_mov_b32_e32 v4, v104
	v_lshlrev_b64_e32 v[61:62], 3, v[61:62]
	s_wait_alu 0xfffe
	v_add_co_u32 v2, vcc_lo, s4, v2
	s_wait_alu 0xfffd
	v_add_co_ci_u32_e32 v3, vcc_lo, s5, v3, vcc_lo
	v_lshlrev_b64_e32 v[99:100], 3, v[99:100]
	v_mad_co_u64_u32 v[101:102], null, s9, v127, v[4:5]
	v_mov_b32_e32 v4, v107
	v_add_co_u32 v61, vcc_lo, v2, v61
	s_wait_alu 0xfffd
	v_add_co_ci_u32_e32 v62, vcc_lo, v3, v62, vcc_lo
	v_add_co_u32 v99, vcc_lo, v2, v99
	v_mad_co_u64_u32 v[107:108], null, s9, v130, v[4:5]
	v_mad_co_u64_u32 v[108:109], null, s8, v125, 0
	s_wait_alu 0xfffd
	v_add_co_ci_u32_e32 v100, vcc_lo, v3, v100, vcc_lo
	s_clause 0x1
	global_store_b64 v[61:62], v[95:96], off
	global_store_b64 v[99:100], v[97:98], off
	v_mad_co_u64_u32 v[95:96], null, s8, v126, 0
	v_mov_b32_e32 v104, v101
	v_mov_b32_e32 v4, v109
	v_lshlrev_b64_e32 v[97:98], 3, v[106:107]
	s_delay_alu instid0(VALU_DEP_3) | instskip(NEXT) | instid1(VALU_DEP_3)
	v_lshlrev_b64_e32 v[61:62], 3, v[103:104]
	v_mad_co_u64_u32 v[99:100], null, s9, v125, v[4:5]
	v_mov_b32_e32 v4, v96
	v_mad_co_u64_u32 v[100:101], null, s8, v128, 0
	s_delay_alu instid0(VALU_DEP_4) | instskip(NEXT) | instid1(VALU_DEP_3)
	v_add_co_u32 v61, vcc_lo, v2, v61
	v_mad_co_u64_u32 v[102:103], null, s9, v126, v[4:5]
	s_wait_alu 0xfffd
	v_add_co_ci_u32_e32 v62, vcc_lo, v3, v62, vcc_lo
	v_add_co_u32 v96, vcc_lo, v2, v97
	s_wait_alu 0xfffd
	v_add_co_ci_u32_e32 v97, vcc_lo, v3, v98, vcc_lo
	v_mov_b32_e32 v109, v99
	s_clause 0x1
	global_store_b64 v[61:62], v[89:90], off
	global_store_b64 v[96:97], v[93:94], off
	v_mov_b32_e32 v4, v101
	v_mov_b32_e32 v96, v102
	v_lshlrev_b64_e32 v[61:62], 3, v[108:109]
	s_delay_alu instid0(VALU_DEP_3) | instskip(NEXT) | instid1(VALU_DEP_3)
	v_mad_co_u64_u32 v[89:90], null, s9, v128, v[4:5]
	v_lshlrev_b64_e32 v[93:94], 3, v[95:96]
	v_mad_co_u64_u32 v[95:96], null, s8, v131, 0
	v_and_b32_e32 v4, 0xffff, v123
	v_add_co_u32 v61, vcc_lo, v2, v61
	s_wait_alu 0xfffd
	v_add_co_ci_u32_e32 v62, vcc_lo, v3, v62, vcc_lo
	v_mov_b32_e32 v101, v89
	v_mad_u32_u24 v97, 0x93, v4, v122
	v_mov_b32_e32 v4, v96
	global_store_b64 v[61:62], v[85:86], off
	v_add_co_u32 v61, vcc_lo, v2, v93
	s_wait_alu 0xfffd
	v_add_co_ci_u32_e32 v62, vcc_lo, v3, v94, vcc_lo
	v_lshlrev_b64_e32 v[85:86], 3, v[100:101]
	v_mad_co_u64_u32 v[89:90], null, s8, v97, 0
	v_mad_co_u64_u32 v[93:94], null, s9, v131, v[4:5]
	v_add_nc_u32_e32 v94, 42, v97
	s_delay_alu instid0(VALU_DEP_4)
	v_add_co_u32 v85, vcc_lo, v2, v85
	s_wait_alu 0xfffd
	v_add_co_ci_u32_e32 v86, vcc_lo, v3, v86, vcc_lo
	v_mov_b32_e32 v4, v90
	v_dual_mov_b32 v96, v93 :: v_dual_add_nc_u32 v93, 21, v97
	s_clause 0x1
	global_store_b64 v[61:62], v[81:82], off
	global_store_b64 v[85:86], v[59:60], off
	v_mad_co_u64_u32 v[59:60], null, s9, v97, v[4:5]
	v_mad_co_u64_u32 v[81:82], null, s8, v93, 0
	v_mad_co_u64_u32 v[85:86], null, s8, v94, 0
	v_lshlrev_b64_e32 v[60:61], 3, v[95:96]
	v_add_nc_u32_e32 v96, 63, v97
	v_mov_b32_e32 v90, v59
	v_mov_b32_e32 v4, v82
	;; [unrolled: 1-line block ×3, first 2 shown]
	v_add_co_u32 v59, vcc_lo, v2, v60
	s_wait_alu 0xfffd
	v_add_co_ci_u32_e32 v60, vcc_lo, v3, v61, vcc_lo
	v_lshlrev_b64_e32 v[61:62], 3, v[89:90]
	v_mad_co_u64_u32 v[89:90], null, s9, v93, v[4:5]
	v_mad_co_u64_u32 v[93:94], null, s9, v94, v[82:83]
	;; [unrolled: 1-line block ×3, first 2 shown]
	s_delay_alu instid0(VALU_DEP_4) | instskip(NEXT) | instid1(VALU_DEP_4)
	v_add_co_u32 v61, vcc_lo, v2, v61
	v_mov_b32_e32 v82, v89
	s_wait_alu 0xfffd
	v_add_co_ci_u32_e32 v62, vcc_lo, v3, v62, vcc_lo
	v_mov_b32_e32 v86, v93
	v_mov_b32_e32 v4, v95
	global_store_b64 v[59:60], v[47:48], off
	v_lshlrev_b64_e32 v[47:48], 3, v[81:82]
	global_store_b64 v[61:62], v[91:92], off
	v_add_nc_u32_e32 v62, 0x54, v97
	v_mad_co_u64_u32 v[59:60], null, s9, v96, v[4:5]
	v_lshlrev_b64_e32 v[60:61], 3, v[85:86]
	v_add_co_u32 v47, vcc_lo, v2, v47
	s_wait_alu 0xfffd
	v_add_co_ci_u32_e32 v48, vcc_lo, v3, v48, vcc_lo
	v_mad_co_u64_u32 v[81:82], null, s8, v62, 0
	v_mov_b32_e32 v95, v59
	v_add_co_u32 v59, vcc_lo, v2, v60
	s_wait_alu 0xfffd
	v_add_co_ci_u32_e32 v60, vcc_lo, v3, v61, vcc_lo
	v_add_nc_u32_e32 v85, 0x69, v97
	global_store_b64 v[47:48], v[87:88], off
	v_mov_b32_e32 v4, v82
	global_store_b64 v[59:60], v[79:80], off
	v_add_nc_u32_e32 v88, 0x7e, v97
	v_mad_co_u64_u32 v[59:60], null, s8, v85, 0
	v_mad_co_u64_u32 v[61:62], null, s9, v62, v[4:5]
	v_lshlrev_b64_e32 v[47:48], 3, v[94:95]
	v_add_nc_u32_e32 v89, 0x93, v97
	v_mad_co_u64_u32 v[79:80], null, s8, v88, 0
	v_mov_b32_e32 v4, v60
	s_delay_alu instid0(VALU_DEP_4) | instskip(SKIP_2) | instid1(VALU_DEP_3)
	v_add_co_u32 v47, vcc_lo, v2, v47
	s_wait_alu 0xfffd
	v_add_co_ci_u32_e32 v48, vcc_lo, v3, v48, vcc_lo
	v_mad_co_u64_u32 v[85:86], null, s9, v85, v[4:5]
	v_mad_co_u64_u32 v[86:87], null, s8, v89, 0
	v_mov_b32_e32 v82, v61
	v_mov_b32_e32 v4, v80
	global_store_b64 v[47:48], v[57:58], off
	v_mov_b32_e32 v60, v85
	v_lshlrev_b64_e32 v[47:48], 3, v[81:82]
	v_mov_b32_e32 v57, v87
	v_mad_co_u64_u32 v[61:62], null, s9, v88, v[4:5]
	s_delay_alu instid0(VALU_DEP_4) | instskip(NEXT) | instid1(VALU_DEP_4)
	v_lshlrev_b64_e32 v[58:59], 3, v[59:60]
	v_add_co_u32 v47, vcc_lo, v2, v47
	s_wait_alu 0xfffd
	v_add_co_ci_u32_e32 v48, vcc_lo, v3, v48, vcc_lo
	s_delay_alu instid0(VALU_DEP_3)
	v_mad_co_u64_u32 v[81:82], null, s9, v89, v[57:58]
	v_mov_b32_e32 v80, v61
	v_add_co_u32 v57, vcc_lo, v2, v58
	s_wait_alu 0xfffd
	v_add_co_ci_u32_e32 v58, vcc_lo, v3, v59, vcc_lo
	global_store_b64 v[47:48], v[55:56], off
	v_mov_b32_e32 v87, v81
	v_lshlrev_b64_e32 v[47:48], 3, v[79:80]
	global_store_b64 v[57:58], v[53:54], off
	v_lshlrev_b64_e32 v[53:54], 3, v[86:87]
	v_add_co_u32 v47, vcc_lo, v2, v47
	s_wait_alu 0xfffd
	v_add_co_ci_u32_e32 v48, vcc_lo, v3, v48, vcc_lo
	s_delay_alu instid0(VALU_DEP_3)
	v_add_co_u32 v53, vcc_lo, v2, v53
	s_wait_alu 0xfffd
	v_add_co_ci_u32_e32 v54, vcc_lo, v3, v54, vcc_lo
	s_clause 0x1
	global_store_b64 v[47:48], v[49:50], off
	global_store_b64 v[53:54], v[51:52], off
.LBB0_17:
	s_wait_alu 0xfffe
	s_or_b32 exec_lo, exec_lo, s0
.LBB0_18:
	s_wait_alu 0xfffe
	s_and_saveexec_b32 s0, s16
	s_cbranch_execnz .LBB0_20
; %bb.19:
	s_nop 0
	s_sendmsg sendmsg(MSG_DEALLOC_VGPRS)
	s_endpgm
.LBB0_20:
	v_mul_f32_e32 v4, v66, v26
	v_dual_mul_f32 v26, v65, v26 :: v_dual_mul_f32 v47, v70, v28
	v_mul_f32_e32 v28, v69, v28
	v_mul_f32_e32 v48, v68, v18
	s_delay_alu instid0(VALU_DEP_4) | instskip(NEXT) | instid1(VALU_DEP_4)
	v_fma_f32 v4, v65, v25, -v4
	v_fmac_f32_e32 v26, v66, v25
	v_fma_f32 v25, v69, v27, -v47
	v_dual_mul_f32 v18, v67, v18 :: v_dual_mul_f32 v47, v72, v20
	v_fmac_f32_e32 v28, v70, v27
	v_fma_f32 v27, v67, v17, -v48
	v_mul_f32_e32 v48, v78, v14
	s_delay_alu instid0(VALU_DEP_4) | instskip(SKIP_2) | instid1(VALU_DEP_2)
	v_fmac_f32_e32 v18, v68, v17
	v_fma_f32 v17, v71, v19, -v47
	v_mul_f32_e32 v47, v74, v16
	v_sub_f32_e32 v17, v63, v17
	s_delay_alu instid0(VALU_DEP_2) | instskip(NEXT) | instid1(VALU_DEP_1)
	v_fma_f32 v47, v73, v15, -v47
	v_dual_mul_f32 v20, v71, v20 :: v_dual_sub_f32 v47, v25, v47
	s_delay_alu instid0(VALU_DEP_1) | instskip(SKIP_2) | instid1(VALU_DEP_4)
	v_fmac_f32_e32 v20, v72, v19
	v_fma_f32 v19, v77, v13, -v48
	v_mul_f32_e32 v14, v77, v14
	v_fma_f32 v25, v25, 2.0, -v47
	s_delay_alu instid0(VALU_DEP_2) | instskip(SKIP_2) | instid1(VALU_DEP_3)
	v_dual_sub_f32 v19, v4, v19 :: v_dual_fmac_f32 v14, v78, v13
	v_mul_f32_e32 v13, v73, v16
	v_mul_f32_e32 v16, v76, v84
	v_fma_f32 v4, v4, 2.0, -v19
	s_delay_alu instid0(VALU_DEP_3) | instskip(NEXT) | instid1(VALU_DEP_3)
	v_fmac_f32_e32 v13, v74, v15
	v_fma_f32 v15, v75, v83, -v16
	v_sub_f32_e32 v16, v64, v20
	v_fma_f32 v20, v63, 2.0, -v17
	s_delay_alu instid0(VALU_DEP_3) | instskip(NEXT) | instid1(VALU_DEP_3)
	v_sub_f32_e32 v15, v27, v15
	v_fma_f32 v49, v64, 2.0, -v16
	s_delay_alu instid0(VALU_DEP_3)
	v_sub_f32_e32 v25, v20, v25
	v_sub_f32_e32 v13, v28, v13
	v_add_f32_e32 v47, v16, v47
	v_fma_f32 v27, v27, 2.0, -v15
	v_mul_f32_e32 v48, v75, v84
	v_fma_f32 v20, v20, 2.0, -v25
	v_fma_f32 v28, v28, 2.0, -v13
	v_fma_f32 v16, v16, 2.0, -v47
	v_sub_f32_e32 v27, v4, v27
	v_dual_fmac_f32 v48, v76, v83 :: v_dual_sub_f32 v13, v17, v13
	s_delay_alu instid0(VALU_DEP_4) | instskip(SKIP_1) | instid1(VALU_DEP_4)
	v_sub_f32_e32 v28, v49, v28
	v_sub_f32_e32 v14, v26, v14
	v_fma_f32 v4, v4, 2.0, -v27
	s_delay_alu instid0(VALU_DEP_4) | instskip(NEXT) | instid1(VALU_DEP_4)
	v_fma_f32 v17, v17, 2.0, -v13
	v_add_f32_e32 v27, v28, v27
	s_delay_alu instid0(VALU_DEP_4) | instskip(SKIP_2) | instid1(VALU_DEP_3)
	v_add_f32_e32 v15, v14, v15
	v_sub_f32_e32 v48, v18, v48
	v_fma_f32 v26, v26, 2.0, -v14
	v_fmamk_f32 v53, v15, 0x3f3504f3, v47
	s_delay_alu instid0(VALU_DEP_3) | instskip(SKIP_2) | instid1(VALU_DEP_2)
	v_fma_f32 v18, v18, 2.0, -v48
	v_sub_f32_e32 v48, v19, v48
	v_fma_f32 v14, v14, 2.0, -v15
	v_fmamk_f32 v52, v48, 0x3f3504f3, v13
	s_delay_alu instid0(VALU_DEP_2)
	v_fmamk_f32 v51, v14, 0xbf3504f3, v16
	v_fma_f32 v49, v49, 2.0, -v28
	v_fma_f32 v28, v28, 2.0, -v27
	s_wait_loadcnt 0xe
	v_dual_fmac_f32 v52, 0xbf3504f3, v15 :: v_dual_mul_f32 v15, v44, v46
	v_dual_sub_f32 v18, v26, v18 :: v_dual_fmac_f32 v53, 0x3f3504f3, v48
	v_fma_f32 v19, v19, 2.0, -v48
	s_delay_alu instid0(VALU_DEP_3) | instskip(NEXT) | instid1(VALU_DEP_3)
	v_fma_f32 v15, v43, v45, -v15
	v_fma_f32 v26, v26, 2.0, -v18
	s_delay_alu instid0(VALU_DEP_3) | instskip(NEXT) | instid1(VALU_DEP_2)
	v_fmamk_f32 v50, v19, 0xbf3504f3, v17
	v_dual_fmac_f32 v51, 0x3f3504f3, v19 :: v_dual_sub_f32 v26, v49, v26
	s_delay_alu instid0(VALU_DEP_2) | instskip(SKIP_1) | instid1(VALU_DEP_3)
	v_fmac_f32_e32 v50, 0xbf3504f3, v14
	v_mul_f32_e32 v14, v43, v46
	v_fma_f32 v19, v49, 2.0, -v26
	v_sub_f32_e32 v49, v25, v18
	v_fma_f32 v18, v16, 2.0, -v51
	s_wait_loadcnt 0xc
	v_mul_f32_e32 v16, v39, v42
	v_fmac_f32_e32 v14, v44, v45
	v_fma_f32 v44, v13, 2.0, -v52
	v_mul_f32_e32 v13, v40, v42
	v_fma_f32 v42, v47, 2.0, -v53
	v_sub_f32_e32 v4, v20, v4
	v_fmac_f32_e32 v16, v40, v41
	v_mul_f32_e32 v40, v19, v14
	v_fma_f32 v39, v39, v41, -v13
	v_fma_f32 v17, v17, 2.0, -v50
	v_fma_f32 v20, v20, 2.0, -v4
	v_fma_f32 v25, v25, 2.0, -v49
	v_mul_f32_e32 v41, v18, v16
	s_delay_alu instid0(VALU_DEP_4) | instskip(NEXT) | instid1(VALU_DEP_4)
	v_mul_f32_e32 v16, v17, v16
	v_mul_f32_e32 v14, v20, v14
	v_fma_f32 v13, v20, v15, -v40
	s_wait_loadcnt 0xa
	v_mul_f32_e32 v20, v11, v22
	s_delay_alu instid0(VALU_DEP_3) | instskip(NEXT) | instid1(VALU_DEP_2)
	v_dual_fmac_f32 v14, v19, v15 :: v_dual_mul_f32 v19, v12, v22
	v_fmac_f32_e32 v20, v12, v21
	s_wait_loadcnt 0x8
	v_mul_f32_e32 v22, v7, v10
	v_mul_f32_e32 v10, v8, v10
	v_fma_f32 v15, v17, v39, -v41
	v_fma_f32 v11, v11, v21, -v19
	v_mul_f32_e32 v12, v28, v20
	v_fmac_f32_e32 v22, v8, v9
	v_mul_f32_e32 v8, v25, v20
	v_fma_f32 v17, v7, v9, -v10
	s_delay_alu instid0(VALU_DEP_4)
	v_fma_f32 v7, v25, v11, -v12
	s_wait_loadcnt 0x6
	v_mul_f32_e32 v12, v35, v38
	v_fmac_f32_e32 v8, v28, v11
	v_mul_f32_e32 v11, v36, v38
	v_mul_f32_e32 v9, v42, v22
	s_delay_alu instid0(VALU_DEP_4) | instskip(SKIP_1) | instid1(VALU_DEP_4)
	v_dual_fmac_f32 v12, v36, v37 :: v_dual_add_nc_u32 v25, 37, v119
	v_mul_f32_e32 v10, v44, v22
	v_fma_f32 v19, v35, v37, -v11
	s_wait_loadcnt 0x4
	v_dual_mul_f32 v11, v24, v30 :: v_dual_fmac_f32 v16, v18, v39
	v_mul_f32_e32 v20, v26, v12
	v_mul_f32_e32 v12, v4, v12
	;; [unrolled: 1-line block ×3, first 2 shown]
	s_delay_alu instid0(VALU_DEP_4)
	v_fma_f32 v28, v23, v29, -v11
	s_wait_loadcnt 0x2
	v_mul_f32_e32 v23, v31, v34
	v_fma_f32 v11, v4, v19, -v20
	v_mul_f32_e32 v4, v32, v34
	v_fmac_f32_e32 v12, v26, v19
	v_mad_co_u64_u32 v[19:20], null, s8, v120, 0
	v_fmac_f32_e32 v18, v24, v29
	s_delay_alu instid0(VALU_DEP_4)
	v_fma_f32 v29, v31, v33, -v4
	v_fmac_f32_e32 v23, v32, v33
	s_wait_loadcnt 0x0
	v_mul_f32_e32 v30, v0, v6
	v_mul_f32_e32 v4, v1, v6
	v_mad_co_u64_u32 v[21:22], null, s8, v25, 0
	v_add_nc_u32_e32 v34, 58, v119
	s_delay_alu instid0(VALU_DEP_4)
	v_fmac_f32_e32 v30, v1, v5
	v_mul_f32_e32 v1, v49, v23
	v_fma_f32 v32, v0, v5, -v4
	v_dual_mov_b32 v0, v20 :: v_dual_mul_f32 v31, v27, v23
	v_mov_b32_e32 v4, v22
	v_mad_co_u64_u32 v[23:24], null, s8, v34, 0
	s_delay_alu instid0(VALU_DEP_3)
	v_mad_co_u64_u32 v[5:6], null, s9, v120, v[0:1]
	v_fmac_f32_e32 v1, v27, v29
	v_add_nc_u32_e32 v27, 0x4f, v119
	v_fma_f32 v9, v44, v17, -v9
	v_fmac_f32_e32 v10, v42, v17
	v_dual_mov_b32 v6, v24 :: v_dual_mul_f32 v17, v51, v18
	v_mad_co_u64_u32 v[25:26], null, s9, v25, v[4:5]
	v_dual_mov_b32 v20, v5 :: v_dual_mul_f32 v5, v52, v30
	v_mul_f32_e32 v18, v50, v18
	v_mul_f32_e32 v33, v53, v30
	v_fma_f32 v17, v50, v28, -v17
	s_delay_alu instid0(VALU_DEP_4) | instskip(SKIP_3) | instid1(VALU_DEP_3)
	v_lshlrev_b64_e32 v[19:20], 3, v[19:20]
	v_mov_b32_e32 v22, v25
	v_mad_co_u64_u32 v[24:25], null, s9, v34, v[6:7]
	v_mad_co_u64_u32 v[25:26], null, s8, v27, 0
	v_lshlrev_b64_e32 v[21:22], 3, v[21:22]
	v_add_co_u32 v19, vcc_lo, v2, v19
	s_wait_alu 0xfffd
	v_add_co_ci_u32_e32 v20, vcc_lo, v3, v20, vcc_lo
	v_lshlrev_b64_e32 v[23:24], 3, v[23:24]
	s_delay_alu instid0(VALU_DEP_4)
	v_add_co_u32 v21, vcc_lo, v2, v21
	v_mov_b32_e32 v6, v26
	s_wait_alu 0xfffd
	v_add_co_ci_u32_e32 v22, vcc_lo, v3, v22, vcc_lo
	s_clause 0x1
	global_store_b64 v[19:20], v[13:14], off
	global_store_b64 v[21:22], v[15:16], off
	v_add_nc_u32_e32 v21, 0x64, v119
	v_mad_co_u64_u32 v[15:16], null, s9, v27, v[6:7]
	v_add_co_u32 v13, vcc_lo, v2, v23
	s_wait_alu 0xfffd
	v_add_co_ci_u32_e32 v14, vcc_lo, v3, v24, vcc_lo
	v_add_nc_u32_e32 v22, 0x79, v119
	v_mad_co_u64_u32 v[19:20], null, s8, v21, 0
	v_dual_mov_b32 v26, v15 :: v_dual_add_nc_u32 v23, 0x8e, v119
	global_store_b64 v[13:14], v[7:8], off
	v_mad_co_u64_u32 v[6:7], null, s8, v22, 0
	v_mad_co_u64_u32 v[13:14], null, s8, v23, 0
	v_mov_b32_e32 v8, v20
	v_lshlrev_b64_e32 v[15:16], 3, v[25:26]
	v_dual_fmac_f32 v18, v51, v28 :: v_dual_add_nc_u32 v25, 0xa3, v119
	v_fma_f32 v0, v49, v29, -v31
	s_delay_alu instid0(VALU_DEP_4)
	v_mad_co_u64_u32 v[20:21], null, s9, v21, v[8:9]
	v_mad_co_u64_u32 v[7:8], null, s9, v22, v[7:8]
	v_mov_b32_e32 v8, v14
	v_mad_co_u64_u32 v[21:22], null, s8, v25, 0
	v_add_co_u32 v14, vcc_lo, v2, v15
	s_wait_alu 0xfffd
	v_add_co_ci_u32_e32 v15, vcc_lo, v3, v16, vcc_lo
	v_mad_co_u64_u32 v[23:24], null, s9, v23, v[8:9]
	s_delay_alu instid0(VALU_DEP_4)
	v_mov_b32_e32 v8, v22
	global_store_b64 v[14:15], v[9:10], off
	v_lshlrev_b64_e32 v[9:10], 3, v[19:20]
	v_lshlrev_b64_e32 v[6:7], 3, v[6:7]
	v_fma_f32 v4, v52, v32, -v33
	v_dual_fmac_f32 v5, v53, v32 :: v_dual_mov_b32 v14, v23
	s_delay_alu instid0(VALU_DEP_4) | instskip(SKIP_1) | instid1(VALU_DEP_3)
	v_mad_co_u64_u32 v[15:16], null, s9, v25, v[8:9]
	v_add_co_u32 v8, vcc_lo, v2, v9
	v_lshlrev_b64_e32 v[13:14], 3, v[13:14]
	s_wait_alu 0xfffd
	v_add_co_ci_u32_e32 v9, vcc_lo, v3, v10, vcc_lo
	v_add_co_u32 v6, vcc_lo, v2, v6
	v_mov_b32_e32 v22, v15
	s_wait_alu 0xfffd
	v_add_co_ci_u32_e32 v7, vcc_lo, v3, v7, vcc_lo
	v_add_co_u32 v13, vcc_lo, v2, v13
	s_delay_alu instid0(VALU_DEP_3) | instskip(SKIP_2) | instid1(VALU_DEP_2)
	v_lshlrev_b64_e32 v[15:16], 3, v[21:22]
	s_wait_alu 0xfffd
	v_add_co_ci_u32_e32 v14, vcc_lo, v3, v14, vcc_lo
	v_add_co_u32 v2, vcc_lo, v2, v15
	s_wait_alu 0xfffd
	s_delay_alu instid0(VALU_DEP_3)
	v_add_co_ci_u32_e32 v3, vcc_lo, v3, v16, vcc_lo
	s_clause 0x3
	global_store_b64 v[8:9], v[11:12], off
	global_store_b64 v[6:7], v[17:18], off
	;; [unrolled: 1-line block ×4, first 2 shown]
	s_nop 0
	s_sendmsg sendmsg(MSG_DEALLOC_VGPRS)
	s_endpgm
	.section	.rodata,"a",@progbits
	.p2align	6, 0x0
	.amdhsa_kernel fft_rtc_fwd_len168_factors_3_7_8_wgs_192_tpt_8_dim2_sp_ip_CI_sbcc_twdbase8_2step_dirReg
		.amdhsa_group_segment_fixed_size 0
		.amdhsa_private_segment_fixed_size 0
		.amdhsa_kernarg_size 88
		.amdhsa_user_sgpr_count 2
		.amdhsa_user_sgpr_dispatch_ptr 0
		.amdhsa_user_sgpr_queue_ptr 0
		.amdhsa_user_sgpr_kernarg_segment_ptr 1
		.amdhsa_user_sgpr_dispatch_id 0
		.amdhsa_user_sgpr_private_segment_size 0
		.amdhsa_wavefront_size32 1
		.amdhsa_uses_dynamic_stack 0
		.amdhsa_enable_private_segment 0
		.amdhsa_system_sgpr_workgroup_id_x 1
		.amdhsa_system_sgpr_workgroup_id_y 0
		.amdhsa_system_sgpr_workgroup_id_z 0
		.amdhsa_system_sgpr_workgroup_info 0
		.amdhsa_system_vgpr_workitem_id 0
		.amdhsa_next_free_vgpr 181
		.amdhsa_next_free_sgpr 24
		.amdhsa_reserve_vcc 1
		.amdhsa_float_round_mode_32 0
		.amdhsa_float_round_mode_16_64 0
		.amdhsa_float_denorm_mode_32 3
		.amdhsa_float_denorm_mode_16_64 3
		.amdhsa_fp16_overflow 0
		.amdhsa_workgroup_processor_mode 1
		.amdhsa_memory_ordered 1
		.amdhsa_forward_progress 0
		.amdhsa_round_robin_scheduling 0
		.amdhsa_exception_fp_ieee_invalid_op 0
		.amdhsa_exception_fp_denorm_src 0
		.amdhsa_exception_fp_ieee_div_zero 0
		.amdhsa_exception_fp_ieee_overflow 0
		.amdhsa_exception_fp_ieee_underflow 0
		.amdhsa_exception_fp_ieee_inexact 0
		.amdhsa_exception_int_div_zero 0
	.end_amdhsa_kernel
	.text
.Lfunc_end0:
	.size	fft_rtc_fwd_len168_factors_3_7_8_wgs_192_tpt_8_dim2_sp_ip_CI_sbcc_twdbase8_2step_dirReg, .Lfunc_end0-fft_rtc_fwd_len168_factors_3_7_8_wgs_192_tpt_8_dim2_sp_ip_CI_sbcc_twdbase8_2step_dirReg
                                        ; -- End function
	.section	.AMDGPU.csdata,"",@progbits
; Kernel info:
; codeLenInByte = 14812
; NumSgprs: 26
; NumVgprs: 181
; ScratchSize: 0
; MemoryBound: 0
; FloatMode: 240
; IeeeMode: 1
; LDSByteSize: 0 bytes/workgroup (compile time only)
; SGPRBlocks: 3
; VGPRBlocks: 22
; NumSGPRsForWavesPerEU: 26
; NumVGPRsForWavesPerEU: 181
; Occupancy: 8
; WaveLimiterHint : 1
; COMPUTE_PGM_RSRC2:SCRATCH_EN: 0
; COMPUTE_PGM_RSRC2:USER_SGPR: 2
; COMPUTE_PGM_RSRC2:TRAP_HANDLER: 0
; COMPUTE_PGM_RSRC2:TGID_X_EN: 1
; COMPUTE_PGM_RSRC2:TGID_Y_EN: 0
; COMPUTE_PGM_RSRC2:TGID_Z_EN: 0
; COMPUTE_PGM_RSRC2:TIDIG_COMP_CNT: 0
	.text
	.p2alignl 7, 3214868480
	.fill 96, 4, 3214868480
	.type	__hip_cuid_cd9d1211ae097790,@object ; @__hip_cuid_cd9d1211ae097790
	.section	.bss,"aw",@nobits
	.globl	__hip_cuid_cd9d1211ae097790
__hip_cuid_cd9d1211ae097790:
	.byte	0                               ; 0x0
	.size	__hip_cuid_cd9d1211ae097790, 1

	.ident	"AMD clang version 19.0.0git (https://github.com/RadeonOpenCompute/llvm-project roc-6.4.0 25133 c7fe45cf4b819c5991fe208aaa96edf142730f1d)"
	.section	".note.GNU-stack","",@progbits
	.addrsig
	.addrsig_sym __hip_cuid_cd9d1211ae097790
	.amdgpu_metadata
---
amdhsa.kernels:
  - .args:
      - .actual_access:  read_only
        .address_space:  global
        .offset:         0
        .size:           8
        .value_kind:     global_buffer
      - .address_space:  global
        .offset:         8
        .size:           8
        .value_kind:     global_buffer
      - .actual_access:  read_only
        .address_space:  global
        .offset:         16
        .size:           8
        .value_kind:     global_buffer
      - .actual_access:  read_only
        .address_space:  global
        .offset:         24
        .size:           8
        .value_kind:     global_buffer
      - .offset:         32
        .size:           8
        .value_kind:     by_value
      - .actual_access:  read_only
        .address_space:  global
        .offset:         40
        .size:           8
        .value_kind:     global_buffer
      - .actual_access:  read_only
        .address_space:  global
        .offset:         48
        .size:           8
        .value_kind:     global_buffer
      - .offset:         56
        .size:           4
        .value_kind:     by_value
      - .actual_access:  read_only
        .address_space:  global
        .offset:         64
        .size:           8
        .value_kind:     global_buffer
      - .actual_access:  read_only
        .address_space:  global
        .offset:         72
        .size:           8
        .value_kind:     global_buffer
      - .address_space:  global
        .offset:         80
        .size:           8
        .value_kind:     global_buffer
    .group_segment_fixed_size: 0
    .kernarg_segment_align: 8
    .kernarg_segment_size: 88
    .language:       OpenCL C
    .language_version:
      - 2
      - 0
    .max_flat_workgroup_size: 192
    .name:           fft_rtc_fwd_len168_factors_3_7_8_wgs_192_tpt_8_dim2_sp_ip_CI_sbcc_twdbase8_2step_dirReg
    .private_segment_fixed_size: 0
    .sgpr_count:     26
    .sgpr_spill_count: 0
    .symbol:         fft_rtc_fwd_len168_factors_3_7_8_wgs_192_tpt_8_dim2_sp_ip_CI_sbcc_twdbase8_2step_dirReg.kd
    .uniform_work_group_size: 1
    .uses_dynamic_stack: false
    .vgpr_count:     181
    .vgpr_spill_count: 0
    .wavefront_size: 32
    .workgroup_processor_mode: 1
amdhsa.target:   amdgcn-amd-amdhsa--gfx1201
amdhsa.version:
  - 1
  - 2
...

	.end_amdgpu_metadata
